;; amdgpu-corpus repo=ROCm/rocSPARSE kind=compiled arch=gfx1250 opt=O3
	.amdgcn_target "amdgcn-amd-amdhsa--gfx1250"
	.amdhsa_code_object_version 6
	.section	.text._ZN9rocsparseL17doti_kernel_part1ILj256ELj2EifffEEvT1_PKT2_PKS1_PKT3_PT4_21rocsparse_index_base_,"axG",@progbits,_ZN9rocsparseL17doti_kernel_part1ILj256ELj2EifffEEvT1_PKT2_PKS1_PKT3_PT4_21rocsparse_index_base_,comdat
	.globl	_ZN9rocsparseL17doti_kernel_part1ILj256ELj2EifffEEvT1_PKT2_PKS1_PKT3_PT4_21rocsparse_index_base_ ; -- Begin function _ZN9rocsparseL17doti_kernel_part1ILj256ELj2EifffEEvT1_PKT2_PKS1_PKT3_PT4_21rocsparse_index_base_
	.p2align	8
	.type	_ZN9rocsparseL17doti_kernel_part1ILj256ELj2EifffEEvT1_PKT2_PKS1_PKT3_PT4_21rocsparse_index_base_,@function
_ZN9rocsparseL17doti_kernel_part1ILj256ELj2EifffEEvT1_PKT2_PKS1_PKT3_PT4_21rocsparse_index_base_: ; @_ZN9rocsparseL17doti_kernel_part1ILj256ELj2EifffEEvT1_PKT2_PKS1_PKT3_PT4_21rocsparse_index_base_
; %bb.0:
	s_clause 0x3
	s_load_b32 s12, s[0:1], 0x30
	s_load_b32 s2, s[0:1], 0x0
	;; [unrolled: 1-line block ×3, first 2 shown]
	s_load_b256 s[4:11], s[0:1], 0x8
	s_wait_xcnt 0x0
	s_bfe_u32 s0, ttmp6, 0x4000c
	s_and_b32 s1, ttmp6, 15
	s_add_co_i32 s0, s0, 1
	s_getreg_b32 s13, hwreg(HW_REG_IB_STS2, 6, 4)
	s_mul_i32 s0, ttmp9, s0
	v_mov_b32_e32 v2, 0
	s_add_co_i32 s1, s1, s0
	s_cmp_eq_u32 s13, 0
	s_mov_b32 s13, 0
	s_cselect_b32 s0, ttmp9, s1
	s_wait_kmcnt 0x0
	s_lshl_b32 s1, s12, 9
	s_delay_alu instid0(SALU_CYCLE_1)
	s_cmp_ge_i32 s1, s2
	s_mov_b32 s14, s1
	s_cbranch_scc1 .LBB0_3
; %bb.1:
	v_lshl_or_b32 v1, s0, 9, v0
	v_mov_b32_e32 v2, 0
.LBB0_2:                                ; =>This Inner Loop Header: Depth=1
	s_delay_alu instid0(VALU_DEP_2) | instskip(SKIP_1) | instid1(SALU_CYCLE_1)
	v_add_nc_u32_e32 v3, s13, v1
	s_add_co_i32 s13, s13, s1
	s_add_co_i32 s14, s1, s13
	s_delay_alu instid0(SALU_CYCLE_1)
	s_cmp_lt_i32 s14, s2
	global_load_b32 v4, v3, s[6:7] scale_offset
	v_add_nc_u32_e32 v5, 0x100, v3
	global_load_b32 v6, v5, s[6:7] scale_offset
	global_load_b32 v7, v3, s[4:5] scale_offset
	s_wait_loadcnt 0x2
	s_wait_xcnt 0x0
	v_subrev_nc_u32_e32 v3, s3, v4
	global_load_b32 v4, v5, s[4:5] scale_offset
	global_load_b32 v8, v3, s[8:9] scale_offset
	s_wait_loadcnt 0x3
	s_wait_xcnt 0x0
	v_subrev_nc_u32_e32 v3, s3, v6
	global_load_b32 v3, v3, s[8:9] scale_offset
	s_wait_loadcnt 0x1
	v_fmac_f32_e32 v2, v8, v7
	s_wait_loadcnt 0x0
	s_delay_alu instid0(VALU_DEP_1)
	v_fmac_f32_e32 v2, v3, v4
	s_cbranch_scc1 .LBB0_2
.LBB0_3:
	v_lshl_or_b32 v1, s0, 8, v0
	s_delay_alu instid0(VALU_DEP_1) | instskip(SKIP_1) | instid1(VALU_DEP_1)
	v_subrev_nc_u32_e32 v1, s1, v1
	s_mov_b32 s1, exec_lo
	v_add_nc_u32_e32 v1, s14, v1
	s_delay_alu instid0(VALU_DEP_1)
	v_cmpx_gt_i32_e64 s2, v1
	s_cbranch_execz .LBB0_7
; %bb.4:
	s_lshl_b32 s13, s12, 8
	s_mov_b32 s12, 0
.LBB0_5:                                ; =>This Inner Loop Header: Depth=1
	s_clause 0x1
	global_load_b32 v3, v1, s[6:7] scale_offset
	global_load_b32 v4, v1, s[4:5] scale_offset
	s_wait_loadcnt 0x1
	v_subrev_nc_u32_e32 v3, s3, v3
	global_load_b32 v3, v3, s[8:9] scale_offset
	s_wait_loadcnt 0x0
	v_dual_fmac_f32 v2, v3, v4 :: v_dual_add_nc_u32 v1, s13, v1
	s_delay_alu instid0(VALU_DEP_1) | instskip(SKIP_1) | instid1(SALU_CYCLE_1)
	v_cmp_le_i32_e32 vcc_lo, s2, v1
	s_or_b32 s12, vcc_lo, s12
	s_and_not1_b32 exec_lo, exec_lo, s12
	s_cbranch_execnz .LBB0_5
; %bb.6:
	s_or_b32 exec_lo, exec_lo, s12
.LBB0_7:
	s_delay_alu instid0(SALU_CYCLE_1)
	s_or_b32 exec_lo, exec_lo, s1
	v_lshlrev_b32_e32 v1, 2, v0
	s_mov_b32 s1, exec_lo
	ds_store_b32 v1, v2
	s_wait_dscnt 0x0
	s_barrier_signal -1
	s_barrier_wait -1
	v_cmpx_gt_u32_e32 0x80, v0
	s_cbranch_execz .LBB0_9
; %bb.8:
	ds_load_2addr_stride64_b32 v[2:3], v1 offset1:2
	s_wait_dscnt 0x0
	v_add_f32_e32 v2, v2, v3
	ds_store_b32 v1, v2
.LBB0_9:
	s_or_b32 exec_lo, exec_lo, s1
	s_delay_alu instid0(SALU_CYCLE_1)
	s_mov_b32 s1, exec_lo
	s_wait_dscnt 0x0
	s_barrier_signal -1
	s_barrier_wait -1
	v_cmpx_gt_u32_e32 64, v0
	s_cbranch_execz .LBB0_11
; %bb.10:
	ds_load_2addr_stride64_b32 v[2:3], v1 offset1:1
	s_wait_dscnt 0x0
	v_add_f32_e32 v2, v2, v3
	ds_store_b32 v1, v2
.LBB0_11:
	s_or_b32 exec_lo, exec_lo, s1
	s_delay_alu instid0(SALU_CYCLE_1)
	s_mov_b32 s1, exec_lo
	s_wait_dscnt 0x0
	s_barrier_signal -1
	s_barrier_wait -1
	v_cmpx_gt_u32_e32 32, v0
	s_cbranch_execz .LBB0_13
; %bb.12:
	ds_load_2addr_b32 v[2:3], v1 offset1:32
	s_wait_dscnt 0x0
	v_add_f32_e32 v2, v2, v3
	ds_store_b32 v1, v2
.LBB0_13:
	s_or_b32 exec_lo, exec_lo, s1
	s_delay_alu instid0(SALU_CYCLE_1)
	s_mov_b32 s1, exec_lo
	s_wait_dscnt 0x0
	s_barrier_signal -1
	s_barrier_wait -1
	v_cmpx_gt_u32_e32 16, v0
	s_cbranch_execz .LBB0_15
; %bb.14:
	ds_load_2addr_b32 v[2:3], v1 offset1:16
	s_wait_dscnt 0x0
	v_add_f32_e32 v2, v2, v3
	ds_store_b32 v1, v2
.LBB0_15:
	;; [unrolled: 14-line block ×5, first 2 shown]
	s_or_b32 exec_lo, exec_lo, s1
	v_cmp_eq_u32_e32 vcc_lo, 0, v0
	s_wait_dscnt 0x0
	s_barrier_signal -1
	s_barrier_wait -1
	s_and_saveexec_b32 s1, vcc_lo
	s_cbranch_execz .LBB0_23
; %bb.22:
	v_mov_b32_e32 v2, 0
	ds_load_b64 v[0:1], v2
	s_wait_dscnt 0x0
	v_add_f32_e32 v0, v0, v1
	ds_store_b32 v2, v0
.LBB0_23:
	s_or_b32 exec_lo, exec_lo, s1
	s_wait_dscnt 0x0
	s_barrier_signal -1
	s_barrier_wait -1
	s_and_saveexec_b32 s1, vcc_lo
	s_cbranch_execz .LBB0_25
; %bb.24:
	v_dual_mov_b32 v0, 0 :: v_dual_mov_b32 v1, s0
	ds_load_b32 v0, v0
	s_wait_dscnt 0x0
	global_store_b32 v1, v0, s[10:11] scale_offset
.LBB0_25:
	s_endpgm
	.section	.rodata,"a",@progbits
	.p2align	6, 0x0
	.amdhsa_kernel _ZN9rocsparseL17doti_kernel_part1ILj256ELj2EifffEEvT1_PKT2_PKS1_PKT3_PT4_21rocsparse_index_base_
		.amdhsa_group_segment_fixed_size 1024
		.amdhsa_private_segment_fixed_size 0
		.amdhsa_kernarg_size 304
		.amdhsa_user_sgpr_count 2
		.amdhsa_user_sgpr_dispatch_ptr 0
		.amdhsa_user_sgpr_queue_ptr 0
		.amdhsa_user_sgpr_kernarg_segment_ptr 1
		.amdhsa_user_sgpr_dispatch_id 0
		.amdhsa_user_sgpr_kernarg_preload_length 0
		.amdhsa_user_sgpr_kernarg_preload_offset 0
		.amdhsa_user_sgpr_private_segment_size 0
		.amdhsa_wavefront_size32 1
		.amdhsa_uses_dynamic_stack 0
		.amdhsa_enable_private_segment 0
		.amdhsa_system_sgpr_workgroup_id_x 1
		.amdhsa_system_sgpr_workgroup_id_y 0
		.amdhsa_system_sgpr_workgroup_id_z 0
		.amdhsa_system_sgpr_workgroup_info 0
		.amdhsa_system_vgpr_workitem_id 0
		.amdhsa_next_free_vgpr 9
		.amdhsa_next_free_sgpr 15
		.amdhsa_named_barrier_count 0
		.amdhsa_reserve_vcc 1
		.amdhsa_float_round_mode_32 0
		.amdhsa_float_round_mode_16_64 0
		.amdhsa_float_denorm_mode_32 3
		.amdhsa_float_denorm_mode_16_64 3
		.amdhsa_fp16_overflow 0
		.amdhsa_memory_ordered 1
		.amdhsa_forward_progress 1
		.amdhsa_inst_pref_size 8
		.amdhsa_round_robin_scheduling 0
		.amdhsa_exception_fp_ieee_invalid_op 0
		.amdhsa_exception_fp_denorm_src 0
		.amdhsa_exception_fp_ieee_div_zero 0
		.amdhsa_exception_fp_ieee_overflow 0
		.amdhsa_exception_fp_ieee_underflow 0
		.amdhsa_exception_fp_ieee_inexact 0
		.amdhsa_exception_int_div_zero 0
	.end_amdhsa_kernel
	.section	.text._ZN9rocsparseL17doti_kernel_part1ILj256ELj2EifffEEvT1_PKT2_PKS1_PKT3_PT4_21rocsparse_index_base_,"axG",@progbits,_ZN9rocsparseL17doti_kernel_part1ILj256ELj2EifffEEvT1_PKT2_PKS1_PKT3_PT4_21rocsparse_index_base_,comdat
.Lfunc_end0:
	.size	_ZN9rocsparseL17doti_kernel_part1ILj256ELj2EifffEEvT1_PKT2_PKS1_PKT3_PT4_21rocsparse_index_base_, .Lfunc_end0-_ZN9rocsparseL17doti_kernel_part1ILj256ELj2EifffEEvT1_PKT2_PKS1_PKT3_PT4_21rocsparse_index_base_
                                        ; -- End function
	.set _ZN9rocsparseL17doti_kernel_part1ILj256ELj2EifffEEvT1_PKT2_PKS1_PKT3_PT4_21rocsparse_index_base_.num_vgpr, 9
	.set _ZN9rocsparseL17doti_kernel_part1ILj256ELj2EifffEEvT1_PKT2_PKS1_PKT3_PT4_21rocsparse_index_base_.num_agpr, 0
	.set _ZN9rocsparseL17doti_kernel_part1ILj256ELj2EifffEEvT1_PKT2_PKS1_PKT3_PT4_21rocsparse_index_base_.numbered_sgpr, 15
	.set _ZN9rocsparseL17doti_kernel_part1ILj256ELj2EifffEEvT1_PKT2_PKS1_PKT3_PT4_21rocsparse_index_base_.num_named_barrier, 0
	.set _ZN9rocsparseL17doti_kernel_part1ILj256ELj2EifffEEvT1_PKT2_PKS1_PKT3_PT4_21rocsparse_index_base_.private_seg_size, 0
	.set _ZN9rocsparseL17doti_kernel_part1ILj256ELj2EifffEEvT1_PKT2_PKS1_PKT3_PT4_21rocsparse_index_base_.uses_vcc, 1
	.set _ZN9rocsparseL17doti_kernel_part1ILj256ELj2EifffEEvT1_PKT2_PKS1_PKT3_PT4_21rocsparse_index_base_.uses_flat_scratch, 0
	.set _ZN9rocsparseL17doti_kernel_part1ILj256ELj2EifffEEvT1_PKT2_PKS1_PKT3_PT4_21rocsparse_index_base_.has_dyn_sized_stack, 0
	.set _ZN9rocsparseL17doti_kernel_part1ILj256ELj2EifffEEvT1_PKT2_PKS1_PKT3_PT4_21rocsparse_index_base_.has_recursion, 0
	.set _ZN9rocsparseL17doti_kernel_part1ILj256ELj2EifffEEvT1_PKT2_PKS1_PKT3_PT4_21rocsparse_index_base_.has_indirect_call, 0
	.section	.AMDGPU.csdata,"",@progbits
; Kernel info:
; codeLenInByte = 928
; TotalNumSgprs: 17
; NumVgprs: 9
; ScratchSize: 0
; MemoryBound: 0
; FloatMode: 240
; IeeeMode: 1
; LDSByteSize: 1024 bytes/workgroup (compile time only)
; SGPRBlocks: 0
; VGPRBlocks: 0
; NumSGPRsForWavesPerEU: 17
; NumVGPRsForWavesPerEU: 9
; NamedBarCnt: 0
; Occupancy: 16
; WaveLimiterHint : 1
; COMPUTE_PGM_RSRC2:SCRATCH_EN: 0
; COMPUTE_PGM_RSRC2:USER_SGPR: 2
; COMPUTE_PGM_RSRC2:TRAP_HANDLER: 0
; COMPUTE_PGM_RSRC2:TGID_X_EN: 1
; COMPUTE_PGM_RSRC2:TGID_Y_EN: 0
; COMPUTE_PGM_RSRC2:TGID_Z_EN: 0
; COMPUTE_PGM_RSRC2:TIDIG_COMP_CNT: 0
	.section	.text._ZN9rocsparseL17doti_kernel_part2ILj256EfEEvPT0_S2_,"axG",@progbits,_ZN9rocsparseL17doti_kernel_part2ILj256EfEEvPT0_S2_,comdat
	.globl	_ZN9rocsparseL17doti_kernel_part2ILj256EfEEvPT0_S2_ ; -- Begin function _ZN9rocsparseL17doti_kernel_part2ILj256EfEEvPT0_S2_
	.p2align	8
	.type	_ZN9rocsparseL17doti_kernel_part2ILj256EfEEvPT0_S2_,@function
_ZN9rocsparseL17doti_kernel_part2ILj256EfEEvPT0_S2_: ; @_ZN9rocsparseL17doti_kernel_part2ILj256EfEEvPT0_S2_
; %bb.0:
	s_load_b128 s[0:3], s[0:1], 0x0
	v_lshlrev_b32_e32 v1, 2, v0
	s_mov_b32 s4, exec_lo
	s_wait_kmcnt 0x0
	global_load_b32 v2, v0, s[0:1] scale_offset
	s_wait_loadcnt 0x0
	ds_store_b32 v1, v2
	s_wait_dscnt 0x0
	s_barrier_signal -1
	s_barrier_wait -1
	v_cmpx_gt_u32_e32 0x80, v0
	s_cbranch_execz .LBB1_2
; %bb.1:
	ds_load_2addr_stride64_b32 v[2:3], v1 offset1:2
	s_wait_dscnt 0x0
	v_add_f32_e32 v2, v2, v3
	ds_store_b32 v1, v2
.LBB1_2:
	s_or_b32 exec_lo, exec_lo, s4
	s_delay_alu instid0(SALU_CYCLE_1)
	s_mov_b32 s4, exec_lo
	s_wait_dscnt 0x0
	s_barrier_signal -1
	s_barrier_wait -1
	v_cmpx_gt_u32_e32 64, v0
	s_cbranch_execz .LBB1_4
; %bb.3:
	ds_load_2addr_stride64_b32 v[2:3], v1 offset1:1
	s_wait_dscnt 0x0
	v_add_f32_e32 v2, v2, v3
	ds_store_b32 v1, v2
.LBB1_4:
	s_or_b32 exec_lo, exec_lo, s4
	s_delay_alu instid0(SALU_CYCLE_1)
	s_mov_b32 s4, exec_lo
	s_wait_dscnt 0x0
	s_barrier_signal -1
	s_barrier_wait -1
	v_cmpx_gt_u32_e32 32, v0
	s_cbranch_execz .LBB1_6
; %bb.5:
	ds_load_2addr_b32 v[2:3], v1 offset1:32
	s_wait_dscnt 0x0
	v_add_f32_e32 v2, v2, v3
	ds_store_b32 v1, v2
.LBB1_6:
	s_or_b32 exec_lo, exec_lo, s4
	s_delay_alu instid0(SALU_CYCLE_1)
	s_mov_b32 s4, exec_lo
	s_wait_dscnt 0x0
	s_barrier_signal -1
	s_barrier_wait -1
	v_cmpx_gt_u32_e32 16, v0
	s_cbranch_execz .LBB1_8
; %bb.7:
	ds_load_2addr_b32 v[2:3], v1 offset1:16
	s_wait_dscnt 0x0
	v_add_f32_e32 v2, v2, v3
	ds_store_b32 v1, v2
.LBB1_8:
	;; [unrolled: 14-line block ×5, first 2 shown]
	s_or_b32 exec_lo, exec_lo, s4
	v_cmp_eq_u32_e32 vcc_lo, 0, v0
	s_wait_dscnt 0x0
	s_barrier_signal -1
	s_barrier_wait -1
	s_and_saveexec_b32 s4, vcc_lo
	s_cbranch_execz .LBB1_16
; %bb.15:
	v_mov_b32_e32 v2, 0
	ds_load_b64 v[0:1], v2
	s_wait_dscnt 0x0
	v_add_f32_e32 v0, v0, v1
	ds_store_b32 v2, v0
.LBB1_16:
	s_or_b32 exec_lo, exec_lo, s4
	s_wait_dscnt 0x0
	s_barrier_signal -1
	s_barrier_wait -1
	s_and_saveexec_b32 s4, vcc_lo
	s_cbranch_execz .LBB1_18
; %bb.17:
	v_mov_b32_e32 v0, 0
	s_cmp_eq_u64 s[2:3], 0
	s_cselect_b32 s1, s1, s3
	s_cselect_b32 s0, s0, s2
	ds_load_b32 v1, v0
	s_wait_dscnt 0x0
	global_store_b32 v0, v1, s[0:1]
.LBB1_18:
	s_endpgm
	.section	.rodata,"a",@progbits
	.p2align	6, 0x0
	.amdhsa_kernel _ZN9rocsparseL17doti_kernel_part2ILj256EfEEvPT0_S2_
		.amdhsa_group_segment_fixed_size 1024
		.amdhsa_private_segment_fixed_size 0
		.amdhsa_kernarg_size 16
		.amdhsa_user_sgpr_count 2
		.amdhsa_user_sgpr_dispatch_ptr 0
		.amdhsa_user_sgpr_queue_ptr 0
		.amdhsa_user_sgpr_kernarg_segment_ptr 1
		.amdhsa_user_sgpr_dispatch_id 0
		.amdhsa_user_sgpr_kernarg_preload_length 0
		.amdhsa_user_sgpr_kernarg_preload_offset 0
		.amdhsa_user_sgpr_private_segment_size 0
		.amdhsa_wavefront_size32 1
		.amdhsa_uses_dynamic_stack 0
		.amdhsa_enable_private_segment 0
		.amdhsa_system_sgpr_workgroup_id_x 1
		.amdhsa_system_sgpr_workgroup_id_y 0
		.amdhsa_system_sgpr_workgroup_id_z 0
		.amdhsa_system_sgpr_workgroup_info 0
		.amdhsa_system_vgpr_workitem_id 0
		.amdhsa_next_free_vgpr 4
		.amdhsa_next_free_sgpr 5
		.amdhsa_named_barrier_count 0
		.amdhsa_reserve_vcc 1
		.amdhsa_float_round_mode_32 0
		.amdhsa_float_round_mode_16_64 0
		.amdhsa_float_denorm_mode_32 3
		.amdhsa_float_denorm_mode_16_64 3
		.amdhsa_fp16_overflow 0
		.amdhsa_memory_ordered 1
		.amdhsa_forward_progress 1
		.amdhsa_inst_pref_size 5
		.amdhsa_round_robin_scheduling 0
		.amdhsa_exception_fp_ieee_invalid_op 0
		.amdhsa_exception_fp_denorm_src 0
		.amdhsa_exception_fp_ieee_div_zero 0
		.amdhsa_exception_fp_ieee_overflow 0
		.amdhsa_exception_fp_ieee_underflow 0
		.amdhsa_exception_fp_ieee_inexact 0
		.amdhsa_exception_int_div_zero 0
	.end_amdhsa_kernel
	.section	.text._ZN9rocsparseL17doti_kernel_part2ILj256EfEEvPT0_S2_,"axG",@progbits,_ZN9rocsparseL17doti_kernel_part2ILj256EfEEvPT0_S2_,comdat
.Lfunc_end1:
	.size	_ZN9rocsparseL17doti_kernel_part2ILj256EfEEvPT0_S2_, .Lfunc_end1-_ZN9rocsparseL17doti_kernel_part2ILj256EfEEvPT0_S2_
                                        ; -- End function
	.set _ZN9rocsparseL17doti_kernel_part2ILj256EfEEvPT0_S2_.num_vgpr, 4
	.set _ZN9rocsparseL17doti_kernel_part2ILj256EfEEvPT0_S2_.num_agpr, 0
	.set _ZN9rocsparseL17doti_kernel_part2ILj256EfEEvPT0_S2_.numbered_sgpr, 5
	.set _ZN9rocsparseL17doti_kernel_part2ILj256EfEEvPT0_S2_.num_named_barrier, 0
	.set _ZN9rocsparseL17doti_kernel_part2ILj256EfEEvPT0_S2_.private_seg_size, 0
	.set _ZN9rocsparseL17doti_kernel_part2ILj256EfEEvPT0_S2_.uses_vcc, 1
	.set _ZN9rocsparseL17doti_kernel_part2ILj256EfEEvPT0_S2_.uses_flat_scratch, 0
	.set _ZN9rocsparseL17doti_kernel_part2ILj256EfEEvPT0_S2_.has_dyn_sized_stack, 0
	.set _ZN9rocsparseL17doti_kernel_part2ILj256EfEEvPT0_S2_.has_recursion, 0
	.set _ZN9rocsparseL17doti_kernel_part2ILj256EfEEvPT0_S2_.has_indirect_call, 0
	.section	.AMDGPU.csdata,"",@progbits
; Kernel info:
; codeLenInByte = 552
; TotalNumSgprs: 7
; NumVgprs: 4
; ScratchSize: 0
; MemoryBound: 0
; FloatMode: 240
; IeeeMode: 1
; LDSByteSize: 1024 bytes/workgroup (compile time only)
; SGPRBlocks: 0
; VGPRBlocks: 0
; NumSGPRsForWavesPerEU: 7
; NumVGPRsForWavesPerEU: 4
; NamedBarCnt: 0
; Occupancy: 16
; WaveLimiterHint : 0
; COMPUTE_PGM_RSRC2:SCRATCH_EN: 0
; COMPUTE_PGM_RSRC2:USER_SGPR: 2
; COMPUTE_PGM_RSRC2:TRAP_HANDLER: 0
; COMPUTE_PGM_RSRC2:TGID_X_EN: 1
; COMPUTE_PGM_RSRC2:TGID_Y_EN: 0
; COMPUTE_PGM_RSRC2:TGID_Z_EN: 0
; COMPUTE_PGM_RSRC2:TIDIG_COMP_CNT: 0
	.section	.text._ZN9rocsparseL17doti_kernel_part1ILj256ELj2ElfffEEvT1_PKT2_PKS1_PKT3_PT4_21rocsparse_index_base_,"axG",@progbits,_ZN9rocsparseL17doti_kernel_part1ILj256ELj2ElfffEEvT1_PKT2_PKS1_PKT3_PT4_21rocsparse_index_base_,comdat
	.globl	_ZN9rocsparseL17doti_kernel_part1ILj256ELj2ElfffEEvT1_PKT2_PKS1_PKT3_PT4_21rocsparse_index_base_ ; -- Begin function _ZN9rocsparseL17doti_kernel_part1ILj256ELj2ElfffEEvT1_PKT2_PKS1_PKT3_PT4_21rocsparse_index_base_
	.p2align	8
	.type	_ZN9rocsparseL17doti_kernel_part1ILj256ELj2ElfffEEvT1_PKT2_PKS1_PKT3_PT4_21rocsparse_index_base_,@function
_ZN9rocsparseL17doti_kernel_part1ILj256ELj2ElfffEEvT1_PKT2_PKS1_PKT3_PT4_21rocsparse_index_base_: ; @_ZN9rocsparseL17doti_kernel_part1ILj256ELj2ElfffEEvT1_PKT2_PKS1_PKT3_PT4_21rocsparse_index_base_
; %bb.0:
	s_clause 0x2
	s_load_b32 s21, s[0:1], 0x30
	s_load_b256 s[4:11], s[0:1], 0x0
	s_load_b96 s[12:14], s[0:1], 0x20
	s_wait_xcnt 0x0
	s_bfe_u32 s0, ttmp6, 0x4000c
	s_and_b32 s1, ttmp6, 15
	s_add_co_i32 s0, s0, 1
	s_getreg_b32 s2, hwreg(HW_REG_IB_STS2, 6, 4)
	s_mul_i32 s0, ttmp9, s0
	s_mov_b32 s3, 0
	s_add_co_i32 s1, s1, s0
	s_cmp_eq_u32 s2, 0
	v_mov_b32_e32 v5, 0
	s_cselect_b32 s20, ttmp9, s1
	s_delay_alu instid0(SALU_CYCLE_1) | instskip(NEXT) | instid1(SALU_CYCLE_1)
	s_lshl_b32 s1, s20, 8
	v_or_b32_e32 v4, s1, v0
	s_wait_kmcnt 0x0
	s_lshl_b32 s2, s21, 9
	s_delay_alu instid0(SALU_CYCLE_1)
	v_cmp_le_i64_e64 s0, s[4:5], s[2:3]
	s_and_b32 vcc_lo, exec_lo, s0
	s_mov_b32 s0, s14
	s_cbranch_vccnz .LBB2_3
; %bb.1:
	v_dual_mov_b32 v3, 0 :: v_dual_add_nc_u32 v2, s1, v4
	s_mov_b32 s1, s3
	s_lshl_b64 s[16:17], s[2:3], 2
	s_lshl_b64 s[18:19], s[2:3], 3
	s_mov_b64 s[14:15], s[2:3]
	v_lshl_add_u64 v[6:7], v[2:3], 2, s[6:7]
	v_lshl_add_u64 v[8:9], v[2:3], 3, s[8:9]
	s_delay_alu instid0(VALU_DEP_2) | instskip(NEXT) | instid1(VALU_DEP_2)
	v_add_nc_u64_e32 v[6:7], 0x400, v[6:7]
	v_add_nc_u64_e32 v[8:9], 0x800, v[8:9]
.LBB2_2:                                ; =>This Inner Loop Header: Depth=1
	s_clause 0x1
	global_load_b64 v[10:11], v[8:9], off offset:-2048
	global_load_b64 v[12:13], v[8:9], off
	global_load_b32 v1, v[6:7], off offset:-1024
	s_add_nc_u64 s[14:15], s[14:15], s[2:3]
	s_wait_xcnt 0x1
	v_add_nc_u64_e32 v[8:9], s[18:19], v[8:9]
	v_cmp_lt_i64_e64 s22, s[14:15], s[4:5]
	s_and_b32 vcc_lo, exec_lo, s22
	s_wait_loadcnt 0x2
	v_sub_nc_u64_e64 v[10:11], v[10:11], s[0:1]
	s_wait_loadcnt 0x1
	v_sub_nc_u64_e64 v[12:13], v[12:13], s[0:1]
	s_delay_alu instid0(VALU_DEP_2) | instskip(NEXT) | instid1(VALU_DEP_2)
	v_lshl_add_u64 v[10:11], v[10:11], 2, s[10:11]
	v_lshl_add_u64 v[12:13], v[12:13], 2, s[10:11]
	global_load_b32 v2, v[10:11], off
	global_load_b32 v14, v[6:7], off
	;; [unrolled: 1-line block ×3, first 2 shown]
	s_wait_xcnt 0x1
	v_add_nc_u64_e32 v[6:7], s[16:17], v[6:7]
	s_wait_loadcnt 0x2
	v_fmac_f32_e32 v3, v2, v1
	s_wait_loadcnt 0x0
	s_delay_alu instid0(VALU_DEP_1)
	v_fmac_f32_e32 v3, v15, v14
	s_cbranch_vccnz .LBB2_2
	s_branch .LBB2_4
.LBB2_3:
	v_mov_b32_e32 v3, v5
	s_mov_b64 s[14:15], s[2:3]
.LBB2_4:
	v_sub_nc_u64_e64 v[4:5], v[4:5], s[2:3]
	s_delay_alu instid0(VALU_DEP_1) | instskip(SKIP_1) | instid1(VALU_DEP_1)
	v_add_nc_u64_e32 v[4:5], s[14:15], v[4:5]
	s_mov_b32 s14, exec_lo
	v_cmpx_gt_i64_e64 s[4:5], v[4:5]
	s_cbranch_execz .LBB2_8
; %bb.5:
	s_mov_b32 s1, 0
	v_lshl_add_u64 v[6:7], v[4:5], 2, s[6:7]
	v_lshl_add_u64 v[8:9], v[4:5], 3, s[8:9]
	s_lshl_b32 s2, s21, 8
	s_mov_b32 s3, s1
	s_mov_b32 s15, s1
	s_lshl_b64 s[6:7], s[2:3], 2
	s_lshl_b64 s[8:9], s[2:3], 3
.LBB2_6:                                ; =>This Inner Loop Header: Depth=1
	global_load_b64 v[10:11], v[8:9], off
	v_add_nc_u64_e32 v[4:5], s[2:3], v[4:5]
	s_wait_xcnt 0x0
	v_add_nc_u64_e32 v[8:9], s[8:9], v[8:9]
	s_delay_alu instid0(VALU_DEP_2) | instskip(SKIP_3) | instid1(VALU_DEP_1)
	v_cmp_le_i64_e32 vcc_lo, s[4:5], v[4:5]
	s_or_b32 s15, vcc_lo, s15
	s_wait_loadcnt 0x0
	v_sub_nc_u64_e64 v[10:11], v[10:11], s[0:1]
	v_lshl_add_u64 v[10:11], v[10:11], 2, s[10:11]
	global_load_b32 v1, v[6:7], off
	global_load_b32 v2, v[10:11], off
	s_wait_xcnt 0x1
	v_add_nc_u64_e32 v[6:7], s[6:7], v[6:7]
	s_wait_loadcnt 0x0
	v_fmac_f32_e32 v3, v2, v1
	s_and_not1_b32 exec_lo, exec_lo, s15
	s_cbranch_execnz .LBB2_6
; %bb.7:
	s_or_b32 exec_lo, exec_lo, s15
.LBB2_8:
	s_delay_alu instid0(SALU_CYCLE_1)
	s_or_b32 exec_lo, exec_lo, s14
	v_lshlrev_b32_e32 v1, 2, v0
	s_mov_b32 s0, exec_lo
	ds_store_b32 v1, v3
	s_wait_dscnt 0x0
	s_barrier_signal -1
	s_barrier_wait -1
	v_cmpx_gt_u32_e32 0x80, v0
	s_cbranch_execz .LBB2_10
; %bb.9:
	ds_load_2addr_stride64_b32 v[2:3], v1 offset1:2
	s_wait_dscnt 0x0
	v_add_f32_e32 v2, v2, v3
	ds_store_b32 v1, v2
.LBB2_10:
	s_or_b32 exec_lo, exec_lo, s0
	s_delay_alu instid0(SALU_CYCLE_1)
	s_mov_b32 s0, exec_lo
	s_wait_dscnt 0x0
	s_barrier_signal -1
	s_barrier_wait -1
	v_cmpx_gt_u32_e32 64, v0
	s_cbranch_execz .LBB2_12
; %bb.11:
	ds_load_2addr_stride64_b32 v[2:3], v1 offset1:1
	s_wait_dscnt 0x0
	v_add_f32_e32 v2, v2, v3
	ds_store_b32 v1, v2
.LBB2_12:
	s_or_b32 exec_lo, exec_lo, s0
	s_delay_alu instid0(SALU_CYCLE_1)
	s_mov_b32 s0, exec_lo
	s_wait_dscnt 0x0
	s_barrier_signal -1
	s_barrier_wait -1
	v_cmpx_gt_u32_e32 32, v0
	s_cbranch_execz .LBB2_14
; %bb.13:
	ds_load_2addr_b32 v[2:3], v1 offset1:32
	s_wait_dscnt 0x0
	v_add_f32_e32 v2, v2, v3
	ds_store_b32 v1, v2
.LBB2_14:
	s_or_b32 exec_lo, exec_lo, s0
	s_delay_alu instid0(SALU_CYCLE_1)
	s_mov_b32 s0, exec_lo
	s_wait_dscnt 0x0
	s_barrier_signal -1
	s_barrier_wait -1
	v_cmpx_gt_u32_e32 16, v0
	s_cbranch_execz .LBB2_16
; %bb.15:
	ds_load_2addr_b32 v[2:3], v1 offset1:16
	s_wait_dscnt 0x0
	v_add_f32_e32 v2, v2, v3
	ds_store_b32 v1, v2
.LBB2_16:
	;; [unrolled: 14-line block ×5, first 2 shown]
	s_or_b32 exec_lo, exec_lo, s0
	v_cmp_eq_u32_e32 vcc_lo, 0, v0
	s_wait_dscnt 0x0
	s_barrier_signal -1
	s_barrier_wait -1
	s_and_saveexec_b32 s0, vcc_lo
	s_cbranch_execz .LBB2_24
; %bb.23:
	v_mov_b32_e32 v2, 0
	ds_load_b64 v[0:1], v2
	s_wait_dscnt 0x0
	v_add_f32_e32 v0, v0, v1
	ds_store_b32 v2, v0
.LBB2_24:
	s_or_b32 exec_lo, exec_lo, s0
	s_wait_dscnt 0x0
	s_barrier_signal -1
	s_barrier_wait -1
	s_and_saveexec_b32 s0, vcc_lo
	s_cbranch_execz .LBB2_26
; %bb.25:
	v_dual_mov_b32 v0, 0 :: v_dual_mov_b32 v1, s20
	ds_load_b32 v0, v0
	s_wait_dscnt 0x0
	global_store_b32 v1, v0, s[12:13] scale_offset
.LBB2_26:
	s_endpgm
	.section	.rodata,"a",@progbits
	.p2align	6, 0x0
	.amdhsa_kernel _ZN9rocsparseL17doti_kernel_part1ILj256ELj2ElfffEEvT1_PKT2_PKS1_PKT3_PT4_21rocsparse_index_base_
		.amdhsa_group_segment_fixed_size 1024
		.amdhsa_private_segment_fixed_size 0
		.amdhsa_kernarg_size 304
		.amdhsa_user_sgpr_count 2
		.amdhsa_user_sgpr_dispatch_ptr 0
		.amdhsa_user_sgpr_queue_ptr 0
		.amdhsa_user_sgpr_kernarg_segment_ptr 1
		.amdhsa_user_sgpr_dispatch_id 0
		.amdhsa_user_sgpr_kernarg_preload_length 0
		.amdhsa_user_sgpr_kernarg_preload_offset 0
		.amdhsa_user_sgpr_private_segment_size 0
		.amdhsa_wavefront_size32 1
		.amdhsa_uses_dynamic_stack 0
		.amdhsa_enable_private_segment 0
		.amdhsa_system_sgpr_workgroup_id_x 1
		.amdhsa_system_sgpr_workgroup_id_y 0
		.amdhsa_system_sgpr_workgroup_id_z 0
		.amdhsa_system_sgpr_workgroup_info 0
		.amdhsa_system_vgpr_workitem_id 0
		.amdhsa_next_free_vgpr 16
		.amdhsa_next_free_sgpr 23
		.amdhsa_named_barrier_count 0
		.amdhsa_reserve_vcc 1
		.amdhsa_float_round_mode_32 0
		.amdhsa_float_round_mode_16_64 0
		.amdhsa_float_denorm_mode_32 3
		.amdhsa_float_denorm_mode_16_64 3
		.amdhsa_fp16_overflow 0
		.amdhsa_memory_ordered 1
		.amdhsa_forward_progress 1
		.amdhsa_inst_pref_size 9
		.amdhsa_round_robin_scheduling 0
		.amdhsa_exception_fp_ieee_invalid_op 0
		.amdhsa_exception_fp_denorm_src 0
		.amdhsa_exception_fp_ieee_div_zero 0
		.amdhsa_exception_fp_ieee_overflow 0
		.amdhsa_exception_fp_ieee_underflow 0
		.amdhsa_exception_fp_ieee_inexact 0
		.amdhsa_exception_int_div_zero 0
	.end_amdhsa_kernel
	.section	.text._ZN9rocsparseL17doti_kernel_part1ILj256ELj2ElfffEEvT1_PKT2_PKS1_PKT3_PT4_21rocsparse_index_base_,"axG",@progbits,_ZN9rocsparseL17doti_kernel_part1ILj256ELj2ElfffEEvT1_PKT2_PKS1_PKT3_PT4_21rocsparse_index_base_,comdat
.Lfunc_end2:
	.size	_ZN9rocsparseL17doti_kernel_part1ILj256ELj2ElfffEEvT1_PKT2_PKS1_PKT3_PT4_21rocsparse_index_base_, .Lfunc_end2-_ZN9rocsparseL17doti_kernel_part1ILj256ELj2ElfffEEvT1_PKT2_PKS1_PKT3_PT4_21rocsparse_index_base_
                                        ; -- End function
	.set _ZN9rocsparseL17doti_kernel_part1ILj256ELj2ElfffEEvT1_PKT2_PKS1_PKT3_PT4_21rocsparse_index_base_.num_vgpr, 16
	.set _ZN9rocsparseL17doti_kernel_part1ILj256ELj2ElfffEEvT1_PKT2_PKS1_PKT3_PT4_21rocsparse_index_base_.num_agpr, 0
	.set _ZN9rocsparseL17doti_kernel_part1ILj256ELj2ElfffEEvT1_PKT2_PKS1_PKT3_PT4_21rocsparse_index_base_.numbered_sgpr, 23
	.set _ZN9rocsparseL17doti_kernel_part1ILj256ELj2ElfffEEvT1_PKT2_PKS1_PKT3_PT4_21rocsparse_index_base_.num_named_barrier, 0
	.set _ZN9rocsparseL17doti_kernel_part1ILj256ELj2ElfffEEvT1_PKT2_PKS1_PKT3_PT4_21rocsparse_index_base_.private_seg_size, 0
	.set _ZN9rocsparseL17doti_kernel_part1ILj256ELj2ElfffEEvT1_PKT2_PKS1_PKT3_PT4_21rocsparse_index_base_.uses_vcc, 1
	.set _ZN9rocsparseL17doti_kernel_part1ILj256ELj2ElfffEEvT1_PKT2_PKS1_PKT3_PT4_21rocsparse_index_base_.uses_flat_scratch, 0
	.set _ZN9rocsparseL17doti_kernel_part1ILj256ELj2ElfffEEvT1_PKT2_PKS1_PKT3_PT4_21rocsparse_index_base_.has_dyn_sized_stack, 0
	.set _ZN9rocsparseL17doti_kernel_part1ILj256ELj2ElfffEEvT1_PKT2_PKS1_PKT3_PT4_21rocsparse_index_base_.has_recursion, 0
	.set _ZN9rocsparseL17doti_kernel_part1ILj256ELj2ElfffEEvT1_PKT2_PKS1_PKT3_PT4_21rocsparse_index_base_.has_indirect_call, 0
	.section	.AMDGPU.csdata,"",@progbits
; Kernel info:
; codeLenInByte = 1072
; TotalNumSgprs: 25
; NumVgprs: 16
; ScratchSize: 0
; MemoryBound: 0
; FloatMode: 240
; IeeeMode: 1
; LDSByteSize: 1024 bytes/workgroup (compile time only)
; SGPRBlocks: 0
; VGPRBlocks: 0
; NumSGPRsForWavesPerEU: 25
; NumVGPRsForWavesPerEU: 16
; NamedBarCnt: 0
; Occupancy: 16
; WaveLimiterHint : 1
; COMPUTE_PGM_RSRC2:SCRATCH_EN: 0
; COMPUTE_PGM_RSRC2:USER_SGPR: 2
; COMPUTE_PGM_RSRC2:TRAP_HANDLER: 0
; COMPUTE_PGM_RSRC2:TGID_X_EN: 1
; COMPUTE_PGM_RSRC2:TGID_Y_EN: 0
; COMPUTE_PGM_RSRC2:TGID_Z_EN: 0
; COMPUTE_PGM_RSRC2:TIDIG_COMP_CNT: 0
	.section	.text._ZN9rocsparseL17doti_kernel_part1ILj256ELj2EidddEEvT1_PKT2_PKS1_PKT3_PT4_21rocsparse_index_base_,"axG",@progbits,_ZN9rocsparseL17doti_kernel_part1ILj256ELj2EidddEEvT1_PKT2_PKS1_PKT3_PT4_21rocsparse_index_base_,comdat
	.globl	_ZN9rocsparseL17doti_kernel_part1ILj256ELj2EidddEEvT1_PKT2_PKS1_PKT3_PT4_21rocsparse_index_base_ ; -- Begin function _ZN9rocsparseL17doti_kernel_part1ILj256ELj2EidddEEvT1_PKT2_PKS1_PKT3_PT4_21rocsparse_index_base_
	.p2align	8
	.type	_ZN9rocsparseL17doti_kernel_part1ILj256ELj2EidddEEvT1_PKT2_PKS1_PKT3_PT4_21rocsparse_index_base_,@function
_ZN9rocsparseL17doti_kernel_part1ILj256ELj2EidddEEvT1_PKT2_PKS1_PKT3_PT4_21rocsparse_index_base_: ; @_ZN9rocsparseL17doti_kernel_part1ILj256ELj2EidddEEvT1_PKT2_PKS1_PKT3_PT4_21rocsparse_index_base_
; %bb.0:
	s_clause 0x3
	s_load_b32 s12, s[0:1], 0x30
	s_load_b32 s2, s[0:1], 0x0
	;; [unrolled: 1-line block ×3, first 2 shown]
	s_load_b256 s[4:11], s[0:1], 0x8
	s_wait_xcnt 0x0
	s_bfe_u32 s0, ttmp6, 0x4000c
	s_and_b32 s1, ttmp6, 15
	s_add_co_i32 s0, s0, 1
	s_getreg_b32 s13, hwreg(HW_REG_IB_STS2, 6, 4)
	s_mul_i32 s0, ttmp9, s0
	v_mov_b64_e32 v[2:3], 0
	s_add_co_i32 s1, s1, s0
	s_cmp_eq_u32 s13, 0
	s_mov_b32 s13, 0
	s_cselect_b32 s0, ttmp9, s1
	s_wait_kmcnt 0x0
	s_lshl_b32 s1, s12, 9
	s_delay_alu instid0(SALU_CYCLE_1)
	s_cmp_ge_i32 s1, s2
	s_mov_b32 s14, s1
	s_cbranch_scc1 .LBB3_3
; %bb.1:
	v_mov_b64_e32 v[2:3], 0
	v_lshl_or_b32 v1, s0, 9, v0
.LBB3_2:                                ; =>This Inner Loop Header: Depth=1
	s_delay_alu instid0(VALU_DEP_1) | instskip(SKIP_1) | instid1(SALU_CYCLE_1)
	v_add_nc_u32_e32 v6, s13, v1
	s_add_co_i32 s13, s13, s1
	s_add_co_i32 s14, s1, s13
	s_delay_alu instid0(SALU_CYCLE_1)
	s_cmp_lt_i32 s14, s2
	global_load_b32 v7, v6, s[6:7] scale_offset
	v_add_nc_u32_e32 v10, 0x100, v6
	global_load_b32 v11, v10, s[6:7] scale_offset
	global_load_b64 v[4:5], v6, s[4:5] scale_offset
	s_wait_loadcnt 0x2
	v_subrev_nc_u32_e32 v12, s3, v7
	global_load_b64 v[6:7], v12, s[8:9] scale_offset
	global_load_b64 v[8:9], v10, s[4:5] scale_offset
	s_wait_loadcnt 0x3
	s_wait_xcnt 0x0
	v_subrev_nc_u32_e32 v10, s3, v11
	global_load_b64 v[10:11], v10, s[8:9] scale_offset
	s_wait_loadcnt 0x2
	v_fmac_f64_e32 v[2:3], v[6:7], v[4:5]
	s_wait_loadcnt 0x0
	s_delay_alu instid0(VALU_DEP_1)
	v_fmac_f64_e32 v[2:3], v[10:11], v[8:9]
	s_cbranch_scc1 .LBB3_2
.LBB3_3:
	v_lshl_or_b32 v1, s0, 8, v0
	s_delay_alu instid0(VALU_DEP_1) | instskip(SKIP_1) | instid1(VALU_DEP_1)
	v_subrev_nc_u32_e32 v1, s1, v1
	s_mov_b32 s1, exec_lo
	v_add_nc_u32_e32 v1, s14, v1
	s_delay_alu instid0(VALU_DEP_1)
	v_cmpx_gt_i32_e64 s2, v1
	s_cbranch_execz .LBB3_7
; %bb.4:
	s_lshl_b32 s13, s12, 8
	s_mov_b32 s12, 0
.LBB3_5:                                ; =>This Inner Loop Header: Depth=1
	s_clause 0x1
	global_load_b32 v6, v1, s[6:7] scale_offset
	global_load_b64 v[4:5], v1, s[4:5] scale_offset
	s_wait_xcnt 0x0
	v_add_nc_u32_e32 v1, s13, v1
	s_delay_alu instid0(VALU_DEP_1)
	v_cmp_le_i32_e32 vcc_lo, s2, v1
	s_or_b32 s12, vcc_lo, s12
	s_wait_loadcnt 0x1
	v_subrev_nc_u32_e32 v6, s3, v6
	global_load_b64 v[6:7], v6, s[8:9] scale_offset
	s_wait_loadcnt 0x0
	v_fmac_f64_e32 v[2:3], v[6:7], v[4:5]
	s_and_not1_b32 exec_lo, exec_lo, s12
	s_cbranch_execnz .LBB3_5
; %bb.6:
	s_or_b32 exec_lo, exec_lo, s12
.LBB3_7:
	s_delay_alu instid0(SALU_CYCLE_1)
	s_or_b32 exec_lo, exec_lo, s1
	v_lshlrev_b32_e32 v1, 3, v0
	s_mov_b32 s1, exec_lo
	ds_store_b64 v1, v[2:3]
	s_wait_dscnt 0x0
	s_barrier_signal -1
	s_barrier_wait -1
	v_cmpx_gt_u32_e32 0x80, v0
	s_cbranch_execz .LBB3_9
; %bb.8:
	ds_load_2addr_stride64_b64 v[2:5], v1 offset1:2
	s_wait_dscnt 0x0
	v_add_f64_e32 v[2:3], v[2:3], v[4:5]
	ds_store_b64 v1, v[2:3]
.LBB3_9:
	s_or_b32 exec_lo, exec_lo, s1
	s_delay_alu instid0(SALU_CYCLE_1)
	s_mov_b32 s1, exec_lo
	s_wait_dscnt 0x0
	s_barrier_signal -1
	s_barrier_wait -1
	v_cmpx_gt_u32_e32 64, v0
	s_cbranch_execz .LBB3_11
; %bb.10:
	ds_load_2addr_stride64_b64 v[2:5], v1 offset1:1
	s_wait_dscnt 0x0
	v_add_f64_e32 v[2:3], v[2:3], v[4:5]
	ds_store_b64 v1, v[2:3]
.LBB3_11:
	s_or_b32 exec_lo, exec_lo, s1
	s_delay_alu instid0(SALU_CYCLE_1)
	s_mov_b32 s1, exec_lo
	s_wait_dscnt 0x0
	s_barrier_signal -1
	s_barrier_wait -1
	v_cmpx_gt_u32_e32 32, v0
	s_cbranch_execz .LBB3_13
; %bb.12:
	ds_load_2addr_b64 v[2:5], v1 offset1:32
	s_wait_dscnt 0x0
	v_add_f64_e32 v[2:3], v[2:3], v[4:5]
	ds_store_b64 v1, v[2:3]
.LBB3_13:
	s_or_b32 exec_lo, exec_lo, s1
	s_delay_alu instid0(SALU_CYCLE_1)
	s_mov_b32 s1, exec_lo
	s_wait_dscnt 0x0
	s_barrier_signal -1
	s_barrier_wait -1
	v_cmpx_gt_u32_e32 16, v0
	s_cbranch_execz .LBB3_15
; %bb.14:
	ds_load_2addr_b64 v[2:5], v1 offset1:16
	s_wait_dscnt 0x0
	v_add_f64_e32 v[2:3], v[2:3], v[4:5]
	ds_store_b64 v1, v[2:3]
.LBB3_15:
	;; [unrolled: 14-line block ×5, first 2 shown]
	s_or_b32 exec_lo, exec_lo, s1
	v_cmp_eq_u32_e32 vcc_lo, 0, v0
	s_wait_dscnt 0x0
	s_barrier_signal -1
	s_barrier_wait -1
	s_and_saveexec_b32 s1, vcc_lo
	s_cbranch_execz .LBB3_23
; %bb.22:
	v_mov_b32_e32 v4, 0
	ds_load_b128 v[0:3], v4
	s_wait_dscnt 0x0
	v_add_f64_e32 v[0:1], v[0:1], v[2:3]
	ds_store_b64 v4, v[0:1]
.LBB3_23:
	s_or_b32 exec_lo, exec_lo, s1
	s_wait_dscnt 0x0
	s_barrier_signal -1
	s_barrier_wait -1
	s_and_saveexec_b32 s1, vcc_lo
	s_cbranch_execz .LBB3_25
; %bb.24:
	v_dual_mov_b32 v0, 0 :: v_dual_mov_b32 v2, s0
	ds_load_b64 v[0:1], v0
	s_wait_dscnt 0x0
	global_store_b64 v2, v[0:1], s[10:11] scale_offset
.LBB3_25:
	s_endpgm
	.section	.rodata,"a",@progbits
	.p2align	6, 0x0
	.amdhsa_kernel _ZN9rocsparseL17doti_kernel_part1ILj256ELj2EidddEEvT1_PKT2_PKS1_PKT3_PT4_21rocsparse_index_base_
		.amdhsa_group_segment_fixed_size 2048
		.amdhsa_private_segment_fixed_size 0
		.amdhsa_kernarg_size 304
		.amdhsa_user_sgpr_count 2
		.amdhsa_user_sgpr_dispatch_ptr 0
		.amdhsa_user_sgpr_queue_ptr 0
		.amdhsa_user_sgpr_kernarg_segment_ptr 1
		.amdhsa_user_sgpr_dispatch_id 0
		.amdhsa_user_sgpr_kernarg_preload_length 0
		.amdhsa_user_sgpr_kernarg_preload_offset 0
		.amdhsa_user_sgpr_private_segment_size 0
		.amdhsa_wavefront_size32 1
		.amdhsa_uses_dynamic_stack 0
		.amdhsa_enable_private_segment 0
		.amdhsa_system_sgpr_workgroup_id_x 1
		.amdhsa_system_sgpr_workgroup_id_y 0
		.amdhsa_system_sgpr_workgroup_id_z 0
		.amdhsa_system_sgpr_workgroup_info 0
		.amdhsa_system_vgpr_workitem_id 0
		.amdhsa_next_free_vgpr 13
		.amdhsa_next_free_sgpr 15
		.amdhsa_named_barrier_count 0
		.amdhsa_reserve_vcc 1
		.amdhsa_float_round_mode_32 0
		.amdhsa_float_round_mode_16_64 0
		.amdhsa_float_denorm_mode_32 3
		.amdhsa_float_denorm_mode_16_64 3
		.amdhsa_fp16_overflow 0
		.amdhsa_memory_ordered 1
		.amdhsa_forward_progress 1
		.amdhsa_inst_pref_size 8
		.amdhsa_round_robin_scheduling 0
		.amdhsa_exception_fp_ieee_invalid_op 0
		.amdhsa_exception_fp_denorm_src 0
		.amdhsa_exception_fp_ieee_div_zero 0
		.amdhsa_exception_fp_ieee_overflow 0
		.amdhsa_exception_fp_ieee_underflow 0
		.amdhsa_exception_fp_ieee_inexact 0
		.amdhsa_exception_int_div_zero 0
	.end_amdhsa_kernel
	.section	.text._ZN9rocsparseL17doti_kernel_part1ILj256ELj2EidddEEvT1_PKT2_PKS1_PKT3_PT4_21rocsparse_index_base_,"axG",@progbits,_ZN9rocsparseL17doti_kernel_part1ILj256ELj2EidddEEvT1_PKT2_PKS1_PKT3_PT4_21rocsparse_index_base_,comdat
.Lfunc_end3:
	.size	_ZN9rocsparseL17doti_kernel_part1ILj256ELj2EidddEEvT1_PKT2_PKS1_PKT3_PT4_21rocsparse_index_base_, .Lfunc_end3-_ZN9rocsparseL17doti_kernel_part1ILj256ELj2EidddEEvT1_PKT2_PKS1_PKT3_PT4_21rocsparse_index_base_
                                        ; -- End function
	.set _ZN9rocsparseL17doti_kernel_part1ILj256ELj2EidddEEvT1_PKT2_PKS1_PKT3_PT4_21rocsparse_index_base_.num_vgpr, 13
	.set _ZN9rocsparseL17doti_kernel_part1ILj256ELj2EidddEEvT1_PKT2_PKS1_PKT3_PT4_21rocsparse_index_base_.num_agpr, 0
	.set _ZN9rocsparseL17doti_kernel_part1ILj256ELj2EidddEEvT1_PKT2_PKS1_PKT3_PT4_21rocsparse_index_base_.numbered_sgpr, 15
	.set _ZN9rocsparseL17doti_kernel_part1ILj256ELj2EidddEEvT1_PKT2_PKS1_PKT3_PT4_21rocsparse_index_base_.num_named_barrier, 0
	.set _ZN9rocsparseL17doti_kernel_part1ILj256ELj2EidddEEvT1_PKT2_PKS1_PKT3_PT4_21rocsparse_index_base_.private_seg_size, 0
	.set _ZN9rocsparseL17doti_kernel_part1ILj256ELj2EidddEEvT1_PKT2_PKS1_PKT3_PT4_21rocsparse_index_base_.uses_vcc, 1
	.set _ZN9rocsparseL17doti_kernel_part1ILj256ELj2EidddEEvT1_PKT2_PKS1_PKT3_PT4_21rocsparse_index_base_.uses_flat_scratch, 0
	.set _ZN9rocsparseL17doti_kernel_part1ILj256ELj2EidddEEvT1_PKT2_PKS1_PKT3_PT4_21rocsparse_index_base_.has_dyn_sized_stack, 0
	.set _ZN9rocsparseL17doti_kernel_part1ILj256ELj2EidddEEvT1_PKT2_PKS1_PKT3_PT4_21rocsparse_index_base_.has_recursion, 0
	.set _ZN9rocsparseL17doti_kernel_part1ILj256ELj2EidddEEvT1_PKT2_PKS1_PKT3_PT4_21rocsparse_index_base_.has_indirect_call, 0
	.section	.AMDGPU.csdata,"",@progbits
; Kernel info:
; codeLenInByte = 932
; TotalNumSgprs: 17
; NumVgprs: 13
; ScratchSize: 0
; MemoryBound: 0
; FloatMode: 240
; IeeeMode: 1
; LDSByteSize: 2048 bytes/workgroup (compile time only)
; SGPRBlocks: 0
; VGPRBlocks: 0
; NumSGPRsForWavesPerEU: 17
; NumVGPRsForWavesPerEU: 13
; NamedBarCnt: 0
; Occupancy: 16
; WaveLimiterHint : 1
; COMPUTE_PGM_RSRC2:SCRATCH_EN: 0
; COMPUTE_PGM_RSRC2:USER_SGPR: 2
; COMPUTE_PGM_RSRC2:TRAP_HANDLER: 0
; COMPUTE_PGM_RSRC2:TGID_X_EN: 1
; COMPUTE_PGM_RSRC2:TGID_Y_EN: 0
; COMPUTE_PGM_RSRC2:TGID_Z_EN: 0
; COMPUTE_PGM_RSRC2:TIDIG_COMP_CNT: 0
	.section	.text._ZN9rocsparseL17doti_kernel_part2ILj256EdEEvPT0_S2_,"axG",@progbits,_ZN9rocsparseL17doti_kernel_part2ILj256EdEEvPT0_S2_,comdat
	.globl	_ZN9rocsparseL17doti_kernel_part2ILj256EdEEvPT0_S2_ ; -- Begin function _ZN9rocsparseL17doti_kernel_part2ILj256EdEEvPT0_S2_
	.p2align	8
	.type	_ZN9rocsparseL17doti_kernel_part2ILj256EdEEvPT0_S2_,@function
_ZN9rocsparseL17doti_kernel_part2ILj256EdEEvPT0_S2_: ; @_ZN9rocsparseL17doti_kernel_part2ILj256EdEEvPT0_S2_
; %bb.0:
	s_load_b128 s[0:3], s[0:1], 0x0
	v_lshlrev_b32_e32 v1, 3, v0
	s_mov_b32 s4, exec_lo
	s_wait_kmcnt 0x0
	global_load_b64 v[2:3], v0, s[0:1] scale_offset
	s_wait_loadcnt 0x0
	ds_store_b64 v1, v[2:3]
	s_wait_dscnt 0x0
	s_barrier_signal -1
	s_barrier_wait -1
	v_cmpx_gt_u32_e32 0x80, v0
	s_cbranch_execz .LBB4_2
; %bb.1:
	ds_load_2addr_stride64_b64 v[2:5], v1 offset1:2
	s_wait_dscnt 0x0
	v_add_f64_e32 v[2:3], v[2:3], v[4:5]
	ds_store_b64 v1, v[2:3]
.LBB4_2:
	s_or_b32 exec_lo, exec_lo, s4
	s_delay_alu instid0(SALU_CYCLE_1)
	s_mov_b32 s4, exec_lo
	s_wait_dscnt 0x0
	s_barrier_signal -1
	s_barrier_wait -1
	v_cmpx_gt_u32_e32 64, v0
	s_cbranch_execz .LBB4_4
; %bb.3:
	ds_load_2addr_stride64_b64 v[2:5], v1 offset1:1
	s_wait_dscnt 0x0
	v_add_f64_e32 v[2:3], v[2:3], v[4:5]
	ds_store_b64 v1, v[2:3]
.LBB4_4:
	s_or_b32 exec_lo, exec_lo, s4
	s_delay_alu instid0(SALU_CYCLE_1)
	s_mov_b32 s4, exec_lo
	s_wait_dscnt 0x0
	s_barrier_signal -1
	s_barrier_wait -1
	v_cmpx_gt_u32_e32 32, v0
	s_cbranch_execz .LBB4_6
; %bb.5:
	ds_load_2addr_b64 v[2:5], v1 offset1:32
	s_wait_dscnt 0x0
	v_add_f64_e32 v[2:3], v[2:3], v[4:5]
	ds_store_b64 v1, v[2:3]
.LBB4_6:
	s_or_b32 exec_lo, exec_lo, s4
	s_delay_alu instid0(SALU_CYCLE_1)
	s_mov_b32 s4, exec_lo
	s_wait_dscnt 0x0
	s_barrier_signal -1
	s_barrier_wait -1
	v_cmpx_gt_u32_e32 16, v0
	s_cbranch_execz .LBB4_8
; %bb.7:
	ds_load_2addr_b64 v[2:5], v1 offset1:16
	s_wait_dscnt 0x0
	v_add_f64_e32 v[2:3], v[2:3], v[4:5]
	ds_store_b64 v1, v[2:3]
.LBB4_8:
	;; [unrolled: 14-line block ×5, first 2 shown]
	s_or_b32 exec_lo, exec_lo, s4
	v_cmp_eq_u32_e32 vcc_lo, 0, v0
	s_wait_dscnt 0x0
	s_barrier_signal -1
	s_barrier_wait -1
	s_and_saveexec_b32 s4, vcc_lo
	s_cbranch_execz .LBB4_16
; %bb.15:
	v_mov_b32_e32 v4, 0
	ds_load_b128 v[0:3], v4
	s_wait_dscnt 0x0
	v_add_f64_e32 v[0:1], v[0:1], v[2:3]
	ds_store_b64 v4, v[0:1]
.LBB4_16:
	s_or_b32 exec_lo, exec_lo, s4
	s_wait_dscnt 0x0
	s_barrier_signal -1
	s_barrier_wait -1
	s_and_saveexec_b32 s4, vcc_lo
	s_cbranch_execz .LBB4_18
; %bb.17:
	v_mov_b32_e32 v2, 0
	s_cmp_eq_u64 s[2:3], 0
	s_cselect_b32 s1, s1, s3
	s_cselect_b32 s0, s0, s2
	ds_load_b64 v[0:1], v2
	s_wait_dscnt 0x0
	global_store_b64 v2, v[0:1], s[0:1]
.LBB4_18:
	s_endpgm
	.section	.rodata,"a",@progbits
	.p2align	6, 0x0
	.amdhsa_kernel _ZN9rocsparseL17doti_kernel_part2ILj256EdEEvPT0_S2_
		.amdhsa_group_segment_fixed_size 2048
		.amdhsa_private_segment_fixed_size 0
		.amdhsa_kernarg_size 16
		.amdhsa_user_sgpr_count 2
		.amdhsa_user_sgpr_dispatch_ptr 0
		.amdhsa_user_sgpr_queue_ptr 0
		.amdhsa_user_sgpr_kernarg_segment_ptr 1
		.amdhsa_user_sgpr_dispatch_id 0
		.amdhsa_user_sgpr_kernarg_preload_length 0
		.amdhsa_user_sgpr_kernarg_preload_offset 0
		.amdhsa_user_sgpr_private_segment_size 0
		.amdhsa_wavefront_size32 1
		.amdhsa_uses_dynamic_stack 0
		.amdhsa_enable_private_segment 0
		.amdhsa_system_sgpr_workgroup_id_x 1
		.amdhsa_system_sgpr_workgroup_id_y 0
		.amdhsa_system_sgpr_workgroup_id_z 0
		.amdhsa_system_sgpr_workgroup_info 0
		.amdhsa_system_vgpr_workitem_id 0
		.amdhsa_next_free_vgpr 6
		.amdhsa_next_free_sgpr 5
		.amdhsa_named_barrier_count 0
		.amdhsa_reserve_vcc 1
		.amdhsa_float_round_mode_32 0
		.amdhsa_float_round_mode_16_64 0
		.amdhsa_float_denorm_mode_32 3
		.amdhsa_float_denorm_mode_16_64 3
		.amdhsa_fp16_overflow 0
		.amdhsa_memory_ordered 1
		.amdhsa_forward_progress 1
		.amdhsa_inst_pref_size 5
		.amdhsa_round_robin_scheduling 0
		.amdhsa_exception_fp_ieee_invalid_op 0
		.amdhsa_exception_fp_denorm_src 0
		.amdhsa_exception_fp_ieee_div_zero 0
		.amdhsa_exception_fp_ieee_overflow 0
		.amdhsa_exception_fp_ieee_underflow 0
		.amdhsa_exception_fp_ieee_inexact 0
		.amdhsa_exception_int_div_zero 0
	.end_amdhsa_kernel
	.section	.text._ZN9rocsparseL17doti_kernel_part2ILj256EdEEvPT0_S2_,"axG",@progbits,_ZN9rocsparseL17doti_kernel_part2ILj256EdEEvPT0_S2_,comdat
.Lfunc_end4:
	.size	_ZN9rocsparseL17doti_kernel_part2ILj256EdEEvPT0_S2_, .Lfunc_end4-_ZN9rocsparseL17doti_kernel_part2ILj256EdEEvPT0_S2_
                                        ; -- End function
	.set _ZN9rocsparseL17doti_kernel_part2ILj256EdEEvPT0_S2_.num_vgpr, 6
	.set _ZN9rocsparseL17doti_kernel_part2ILj256EdEEvPT0_S2_.num_agpr, 0
	.set _ZN9rocsparseL17doti_kernel_part2ILj256EdEEvPT0_S2_.numbered_sgpr, 5
	.set _ZN9rocsparseL17doti_kernel_part2ILj256EdEEvPT0_S2_.num_named_barrier, 0
	.set _ZN9rocsparseL17doti_kernel_part2ILj256EdEEvPT0_S2_.private_seg_size, 0
	.set _ZN9rocsparseL17doti_kernel_part2ILj256EdEEvPT0_S2_.uses_vcc, 1
	.set _ZN9rocsparseL17doti_kernel_part2ILj256EdEEvPT0_S2_.uses_flat_scratch, 0
	.set _ZN9rocsparseL17doti_kernel_part2ILj256EdEEvPT0_S2_.has_dyn_sized_stack, 0
	.set _ZN9rocsparseL17doti_kernel_part2ILj256EdEEvPT0_S2_.has_recursion, 0
	.set _ZN9rocsparseL17doti_kernel_part2ILj256EdEEvPT0_S2_.has_indirect_call, 0
	.section	.AMDGPU.csdata,"",@progbits
; Kernel info:
; codeLenInByte = 552
; TotalNumSgprs: 7
; NumVgprs: 6
; ScratchSize: 0
; MemoryBound: 0
; FloatMode: 240
; IeeeMode: 1
; LDSByteSize: 2048 bytes/workgroup (compile time only)
; SGPRBlocks: 0
; VGPRBlocks: 0
; NumSGPRsForWavesPerEU: 7
; NumVGPRsForWavesPerEU: 6
; NamedBarCnt: 0
; Occupancy: 16
; WaveLimiterHint : 0
; COMPUTE_PGM_RSRC2:SCRATCH_EN: 0
; COMPUTE_PGM_RSRC2:USER_SGPR: 2
; COMPUTE_PGM_RSRC2:TRAP_HANDLER: 0
; COMPUTE_PGM_RSRC2:TGID_X_EN: 1
; COMPUTE_PGM_RSRC2:TGID_Y_EN: 0
; COMPUTE_PGM_RSRC2:TGID_Z_EN: 0
; COMPUTE_PGM_RSRC2:TIDIG_COMP_CNT: 0
	.section	.text._ZN9rocsparseL17doti_kernel_part1ILj256ELj2EldddEEvT1_PKT2_PKS1_PKT3_PT4_21rocsparse_index_base_,"axG",@progbits,_ZN9rocsparseL17doti_kernel_part1ILj256ELj2EldddEEvT1_PKT2_PKS1_PKT3_PT4_21rocsparse_index_base_,comdat
	.globl	_ZN9rocsparseL17doti_kernel_part1ILj256ELj2EldddEEvT1_PKT2_PKS1_PKT3_PT4_21rocsparse_index_base_ ; -- Begin function _ZN9rocsparseL17doti_kernel_part1ILj256ELj2EldddEEvT1_PKT2_PKS1_PKT3_PT4_21rocsparse_index_base_
	.p2align	8
	.type	_ZN9rocsparseL17doti_kernel_part1ILj256ELj2EldddEEvT1_PKT2_PKS1_PKT3_PT4_21rocsparse_index_base_,@function
_ZN9rocsparseL17doti_kernel_part1ILj256ELj2EldddEEvT1_PKT2_PKS1_PKT3_PT4_21rocsparse_index_base_: ; @_ZN9rocsparseL17doti_kernel_part1ILj256ELj2EldddEEvT1_PKT2_PKS1_PKT3_PT4_21rocsparse_index_base_
; %bb.0:
	s_clause 0x2
	s_load_b32 s19, s[0:1], 0x30
	s_load_b256 s[4:11], s[0:1], 0x0
	s_load_b96 s[12:14], s[0:1], 0x20
	s_wait_xcnt 0x0
	s_bfe_u32 s0, ttmp6, 0x4000c
	s_and_b32 s1, ttmp6, 15
	s_add_co_i32 s0, s0, 1
	s_getreg_b32 s2, hwreg(HW_REG_IB_STS2, 6, 4)
	s_mul_i32 s0, ttmp9, s0
	s_mov_b32 s3, 0
	s_add_co_i32 s1, s1, s0
	s_cmp_eq_u32 s2, 0
	v_mov_b64_e32 v[2:3], 0
	s_cselect_b32 s18, ttmp9, s1
	v_mov_b32_e32 v5, 0
	s_lshl_b32 s1, s18, 8
	s_delay_alu instid0(SALU_CYCLE_1) | instskip(SKIP_2) | instid1(SALU_CYCLE_1)
	v_or_b32_e32 v4, s1, v0
	s_wait_kmcnt 0x0
	s_lshl_b32 s2, s19, 9
	v_cmp_le_i64_e64 s0, s[4:5], s[2:3]
	s_and_b32 vcc_lo, exec_lo, s0
	s_mov_b32 s0, s14
	s_cbranch_vccnz .LBB5_3
; %bb.1:
	v_dual_mov_b32 v3, v5 :: v_dual_add_nc_u32 v2, s1, v4
	s_mov_b32 s1, s3
	s_lshl_b64 s[16:17], s[2:3], 3
	s_mov_b64 s[14:15], s[2:3]
	s_delay_alu instid0(VALU_DEP_1)
	v_lshlrev_b64_e32 v[6:7], 3, v[2:3]
	v_mov_b64_e32 v[2:3], 0
.LBB5_2:                                ; =>This Inner Loop Header: Depth=1
	s_delay_alu instid0(VALU_DEP_2)
	v_add_nc_u64_e32 v[8:9], s[8:9], v[6:7]
	s_add_nc_u64 s[14:15], s[14:15], s[2:3]
	s_clause 0x1
	global_load_b64 v[10:11], v[8:9], off
	global_load_b64 v[12:13], v[8:9], off offset:2048
	v_cmp_lt_i64_e64 s20, s[14:15], s[4:5]
	s_and_b32 vcc_lo, exec_lo, s20
	s_wait_loadcnt 0x1
	s_wait_xcnt 0x0
	v_sub_nc_u64_e64 v[8:9], v[10:11], s[0:1]
	v_add_nc_u64_e32 v[10:11], s[6:7], v[6:7]
	v_add_nc_u64_e32 v[6:7], s[16:17], v[6:7]
	s_delay_alu instid0(VALU_DEP_3)
	v_lshl_add_u64 v[8:9], v[8:9], 3, s[10:11]
	global_load_b64 v[14:15], v[10:11], off
	global_load_b64 v[16:17], v[8:9], off
	s_wait_loadcnt 0x2
	s_wait_xcnt 0x0
	v_sub_nc_u64_e64 v[8:9], v[12:13], s[0:1]
	s_delay_alu instid0(VALU_DEP_1)
	v_lshl_add_u64 v[8:9], v[8:9], 3, s[10:11]
	global_load_b64 v[12:13], v[10:11], off offset:2048
	global_load_b64 v[18:19], v[8:9], off
	s_wait_loadcnt 0x2
	v_fmac_f64_e32 v[2:3], v[16:17], v[14:15]
	s_wait_loadcnt 0x0
	s_delay_alu instid0(VALU_DEP_1)
	v_fmac_f64_e32 v[2:3], v[18:19], v[12:13]
	s_cbranch_vccnz .LBB5_2
	s_branch .LBB5_4
.LBB5_3:
	s_mov_b64 s[14:15], s[2:3]
.LBB5_4:
	v_sub_nc_u64_e64 v[4:5], v[4:5], s[2:3]
	s_mov_b32 s16, exec_lo
	s_delay_alu instid0(VALU_DEP_1) | instskip(NEXT) | instid1(VALU_DEP_1)
	v_add_nc_u64_e32 v[4:5], s[14:15], v[4:5]
	v_cmpx_gt_i64_e64 s[4:5], v[4:5]
	s_cbranch_execz .LBB5_8
; %bb.5:
	v_lshlrev_b64_e32 v[6:7], 3, v[4:5]
	s_mov_b32 s1, 0
	s_lshl_b32 s2, s19, 8
	s_mov_b32 s3, s1
	s_mov_b32 s17, s1
	s_lshl_b64 s[14:15], s[2:3], 3
.LBB5_6:                                ; =>This Inner Loop Header: Depth=1
	s_delay_alu instid0(VALU_DEP_1)
	v_add_nc_u64_e32 v[8:9], s[8:9], v[6:7]
	v_add_nc_u64_e32 v[10:11], s[6:7], v[6:7]
	;; [unrolled: 1-line block ×4, first 2 shown]
	global_load_b64 v[8:9], v[8:9], off
	v_cmp_le_i64_e32 vcc_lo, s[4:5], v[4:5]
	s_or_b32 s17, vcc_lo, s17
	s_wait_loadcnt 0x0
	v_sub_nc_u64_e64 v[8:9], v[8:9], s[0:1]
	s_delay_alu instid0(VALU_DEP_1)
	v_lshl_add_u64 v[8:9], v[8:9], 3, s[10:11]
	global_load_b64 v[12:13], v[10:11], off
	global_load_b64 v[14:15], v[8:9], off
	s_wait_loadcnt 0x0
	v_fmac_f64_e32 v[2:3], v[14:15], v[12:13]
	s_and_not1_b32 exec_lo, exec_lo, s17
	s_cbranch_execnz .LBB5_6
; %bb.7:
	s_or_b32 exec_lo, exec_lo, s17
.LBB5_8:
	s_delay_alu instid0(SALU_CYCLE_1)
	s_or_b32 exec_lo, exec_lo, s16
	v_lshlrev_b32_e32 v1, 3, v0
	s_mov_b32 s0, exec_lo
	ds_store_b64 v1, v[2:3]
	s_wait_dscnt 0x0
	s_barrier_signal -1
	s_barrier_wait -1
	v_cmpx_gt_u32_e32 0x80, v0
	s_cbranch_execz .LBB5_10
; %bb.9:
	ds_load_2addr_stride64_b64 v[2:5], v1 offset1:2
	s_wait_dscnt 0x0
	v_add_f64_e32 v[2:3], v[2:3], v[4:5]
	ds_store_b64 v1, v[2:3]
.LBB5_10:
	s_or_b32 exec_lo, exec_lo, s0
	s_delay_alu instid0(SALU_CYCLE_1)
	s_mov_b32 s0, exec_lo
	s_wait_dscnt 0x0
	s_barrier_signal -1
	s_barrier_wait -1
	v_cmpx_gt_u32_e32 64, v0
	s_cbranch_execz .LBB5_12
; %bb.11:
	ds_load_2addr_stride64_b64 v[2:5], v1 offset1:1
	s_wait_dscnt 0x0
	v_add_f64_e32 v[2:3], v[2:3], v[4:5]
	ds_store_b64 v1, v[2:3]
.LBB5_12:
	s_or_b32 exec_lo, exec_lo, s0
	s_delay_alu instid0(SALU_CYCLE_1)
	s_mov_b32 s0, exec_lo
	s_wait_dscnt 0x0
	s_barrier_signal -1
	s_barrier_wait -1
	v_cmpx_gt_u32_e32 32, v0
	s_cbranch_execz .LBB5_14
; %bb.13:
	ds_load_2addr_b64 v[2:5], v1 offset1:32
	s_wait_dscnt 0x0
	v_add_f64_e32 v[2:3], v[2:3], v[4:5]
	ds_store_b64 v1, v[2:3]
.LBB5_14:
	s_or_b32 exec_lo, exec_lo, s0
	s_delay_alu instid0(SALU_CYCLE_1)
	s_mov_b32 s0, exec_lo
	s_wait_dscnt 0x0
	s_barrier_signal -1
	s_barrier_wait -1
	v_cmpx_gt_u32_e32 16, v0
	s_cbranch_execz .LBB5_16
; %bb.15:
	ds_load_2addr_b64 v[2:5], v1 offset1:16
	s_wait_dscnt 0x0
	v_add_f64_e32 v[2:3], v[2:3], v[4:5]
	ds_store_b64 v1, v[2:3]
.LBB5_16:
	;; [unrolled: 14-line block ×5, first 2 shown]
	s_or_b32 exec_lo, exec_lo, s0
	v_cmp_eq_u32_e32 vcc_lo, 0, v0
	s_wait_dscnt 0x0
	s_barrier_signal -1
	s_barrier_wait -1
	s_and_saveexec_b32 s0, vcc_lo
	s_cbranch_execz .LBB5_24
; %bb.23:
	v_mov_b32_e32 v4, 0
	ds_load_b128 v[0:3], v4
	s_wait_dscnt 0x0
	v_add_f64_e32 v[0:1], v[0:1], v[2:3]
	ds_store_b64 v4, v[0:1]
.LBB5_24:
	s_or_b32 exec_lo, exec_lo, s0
	s_wait_dscnt 0x0
	s_barrier_signal -1
	s_barrier_wait -1
	s_and_saveexec_b32 s0, vcc_lo
	s_cbranch_execz .LBB5_26
; %bb.25:
	v_dual_mov_b32 v0, 0 :: v_dual_mov_b32 v2, s18
	ds_load_b64 v[0:1], v0
	s_wait_dscnt 0x0
	global_store_b64 v2, v[0:1], s[12:13] scale_offset
.LBB5_26:
	s_endpgm
	.section	.rodata,"a",@progbits
	.p2align	6, 0x0
	.amdhsa_kernel _ZN9rocsparseL17doti_kernel_part1ILj256ELj2EldddEEvT1_PKT2_PKS1_PKT3_PT4_21rocsparse_index_base_
		.amdhsa_group_segment_fixed_size 2048
		.amdhsa_private_segment_fixed_size 0
		.amdhsa_kernarg_size 304
		.amdhsa_user_sgpr_count 2
		.amdhsa_user_sgpr_dispatch_ptr 0
		.amdhsa_user_sgpr_queue_ptr 0
		.amdhsa_user_sgpr_kernarg_segment_ptr 1
		.amdhsa_user_sgpr_dispatch_id 0
		.amdhsa_user_sgpr_kernarg_preload_length 0
		.amdhsa_user_sgpr_kernarg_preload_offset 0
		.amdhsa_user_sgpr_private_segment_size 0
		.amdhsa_wavefront_size32 1
		.amdhsa_uses_dynamic_stack 0
		.amdhsa_enable_private_segment 0
		.amdhsa_system_sgpr_workgroup_id_x 1
		.amdhsa_system_sgpr_workgroup_id_y 0
		.amdhsa_system_sgpr_workgroup_id_z 0
		.amdhsa_system_sgpr_workgroup_info 0
		.amdhsa_system_vgpr_workitem_id 0
		.amdhsa_next_free_vgpr 20
		.amdhsa_next_free_sgpr 21
		.amdhsa_named_barrier_count 0
		.amdhsa_reserve_vcc 1
		.amdhsa_float_round_mode_32 0
		.amdhsa_float_round_mode_16_64 0
		.amdhsa_float_denorm_mode_32 3
		.amdhsa_float_denorm_mode_16_64 3
		.amdhsa_fp16_overflow 0
		.amdhsa_memory_ordered 1
		.amdhsa_forward_progress 1
		.amdhsa_inst_pref_size 9
		.amdhsa_round_robin_scheduling 0
		.amdhsa_exception_fp_ieee_invalid_op 0
		.amdhsa_exception_fp_denorm_src 0
		.amdhsa_exception_fp_ieee_div_zero 0
		.amdhsa_exception_fp_ieee_overflow 0
		.amdhsa_exception_fp_ieee_underflow 0
		.amdhsa_exception_fp_ieee_inexact 0
		.amdhsa_exception_int_div_zero 0
	.end_amdhsa_kernel
	.section	.text._ZN9rocsparseL17doti_kernel_part1ILj256ELj2EldddEEvT1_PKT2_PKS1_PKT3_PT4_21rocsparse_index_base_,"axG",@progbits,_ZN9rocsparseL17doti_kernel_part1ILj256ELj2EldddEEvT1_PKT2_PKS1_PKT3_PT4_21rocsparse_index_base_,comdat
.Lfunc_end5:
	.size	_ZN9rocsparseL17doti_kernel_part1ILj256ELj2EldddEEvT1_PKT2_PKS1_PKT3_PT4_21rocsparse_index_base_, .Lfunc_end5-_ZN9rocsparseL17doti_kernel_part1ILj256ELj2EldddEEvT1_PKT2_PKS1_PKT3_PT4_21rocsparse_index_base_
                                        ; -- End function
	.set _ZN9rocsparseL17doti_kernel_part1ILj256ELj2EldddEEvT1_PKT2_PKS1_PKT3_PT4_21rocsparse_index_base_.num_vgpr, 20
	.set _ZN9rocsparseL17doti_kernel_part1ILj256ELj2EldddEEvT1_PKT2_PKS1_PKT3_PT4_21rocsparse_index_base_.num_agpr, 0
	.set _ZN9rocsparseL17doti_kernel_part1ILj256ELj2EldddEEvT1_PKT2_PKS1_PKT3_PT4_21rocsparse_index_base_.numbered_sgpr, 21
	.set _ZN9rocsparseL17doti_kernel_part1ILj256ELj2EldddEEvT1_PKT2_PKS1_PKT3_PT4_21rocsparse_index_base_.num_named_barrier, 0
	.set _ZN9rocsparseL17doti_kernel_part1ILj256ELj2EldddEEvT1_PKT2_PKS1_PKT3_PT4_21rocsparse_index_base_.private_seg_size, 0
	.set _ZN9rocsparseL17doti_kernel_part1ILj256ELj2EldddEEvT1_PKT2_PKS1_PKT3_PT4_21rocsparse_index_base_.uses_vcc, 1
	.set _ZN9rocsparseL17doti_kernel_part1ILj256ELj2EldddEEvT1_PKT2_PKS1_PKT3_PT4_21rocsparse_index_base_.uses_flat_scratch, 0
	.set _ZN9rocsparseL17doti_kernel_part1ILj256ELj2EldddEEvT1_PKT2_PKS1_PKT3_PT4_21rocsparse_index_base_.has_dyn_sized_stack, 0
	.set _ZN9rocsparseL17doti_kernel_part1ILj256ELj2EldddEEvT1_PKT2_PKS1_PKT3_PT4_21rocsparse_index_base_.has_recursion, 0
	.set _ZN9rocsparseL17doti_kernel_part1ILj256ELj2EldddEEvT1_PKT2_PKS1_PKT3_PT4_21rocsparse_index_base_.has_indirect_call, 0
	.section	.AMDGPU.csdata,"",@progbits
; Kernel info:
; codeLenInByte = 1040
; TotalNumSgprs: 23
; NumVgprs: 20
; ScratchSize: 0
; MemoryBound: 1
; FloatMode: 240
; IeeeMode: 1
; LDSByteSize: 2048 bytes/workgroup (compile time only)
; SGPRBlocks: 0
; VGPRBlocks: 1
; NumSGPRsForWavesPerEU: 23
; NumVGPRsForWavesPerEU: 20
; NamedBarCnt: 0
; Occupancy: 16
; WaveLimiterHint : 1
; COMPUTE_PGM_RSRC2:SCRATCH_EN: 0
; COMPUTE_PGM_RSRC2:USER_SGPR: 2
; COMPUTE_PGM_RSRC2:TRAP_HANDLER: 0
; COMPUTE_PGM_RSRC2:TGID_X_EN: 1
; COMPUTE_PGM_RSRC2:TGID_Y_EN: 0
; COMPUTE_PGM_RSRC2:TGID_Z_EN: 0
; COMPUTE_PGM_RSRC2:TIDIG_COMP_CNT: 0
	.section	.text._ZN9rocsparseL17doti_kernel_part1ILj256ELj2Ei21rocsparse_complex_numIfES2_S2_EEvT1_PKT2_PKS3_PKT3_PT4_21rocsparse_index_base_,"axG",@progbits,_ZN9rocsparseL17doti_kernel_part1ILj256ELj2Ei21rocsparse_complex_numIfES2_S2_EEvT1_PKT2_PKS3_PKT3_PT4_21rocsparse_index_base_,comdat
	.globl	_ZN9rocsparseL17doti_kernel_part1ILj256ELj2Ei21rocsparse_complex_numIfES2_S2_EEvT1_PKT2_PKS3_PKT3_PT4_21rocsparse_index_base_ ; -- Begin function _ZN9rocsparseL17doti_kernel_part1ILj256ELj2Ei21rocsparse_complex_numIfES2_S2_EEvT1_PKT2_PKS3_PKT3_PT4_21rocsparse_index_base_
	.p2align	8
	.type	_ZN9rocsparseL17doti_kernel_part1ILj256ELj2Ei21rocsparse_complex_numIfES2_S2_EEvT1_PKT2_PKS3_PKT3_PT4_21rocsparse_index_base_,@function
_ZN9rocsparseL17doti_kernel_part1ILj256ELj2Ei21rocsparse_complex_numIfES2_S2_EEvT1_PKT2_PKS3_PKT3_PT4_21rocsparse_index_base_: ; @_ZN9rocsparseL17doti_kernel_part1ILj256ELj2Ei21rocsparse_complex_numIfES2_S2_EEvT1_PKT2_PKS3_PKT3_PT4_21rocsparse_index_base_
; %bb.0:
	s_clause 0x3
	s_load_b32 s12, s[0:1], 0x30
	s_load_b32 s2, s[0:1], 0x0
	;; [unrolled: 1-line block ×3, first 2 shown]
	s_load_b256 s[4:11], s[0:1], 0x8
	s_wait_xcnt 0x0
	s_bfe_u32 s0, ttmp6, 0x4000c
	s_and_b32 s1, ttmp6, 15
	s_add_co_i32 s0, s0, 1
	s_getreg_b32 s13, hwreg(HW_REG_IB_STS2, 6, 4)
	s_mul_i32 s0, ttmp9, s0
	s_delay_alu instid0(SALU_CYCLE_1)
	s_add_co_i32 s1, s1, s0
	s_cmp_eq_u32 s13, 0
	s_mov_b32 s13, 0
	s_cselect_b32 s0, ttmp9, s1
	s_wait_kmcnt 0x0
	s_lshl_b32 s1, s12, 9
	s_delay_alu instid0(SALU_CYCLE_1)
	s_cmp_ge_i32 s1, s2
	s_cbranch_scc1 .LBB6_3
; %bb.1:
	v_mov_b32_e32 v2, 0
	v_lshl_or_b32 v1, s0, 9, v0
	s_delay_alu instid0(VALU_DEP_2)
	v_mov_b32_e32 v3, v2
.LBB6_2:                                ; =>This Inner Loop Header: Depth=1
	s_delay_alu instid0(VALU_DEP_2) | instskip(SKIP_1) | instid1(SALU_CYCLE_1)
	v_add_nc_u32_e32 v6, s13, v1
	s_add_co_i32 s13, s13, s1
	s_add_co_i32 s14, s1, s13
	s_delay_alu instid0(SALU_CYCLE_1)
	s_cmp_lt_i32 s14, s2
	global_load_b32 v7, v6, s[6:7] scale_offset
	v_add_nc_u32_e32 v10, 0x100, v6
	global_load_b32 v11, v10, s[6:7] scale_offset
	global_load_b64 v[4:5], v6, s[4:5] scale_offset
	s_wait_loadcnt 0x2
	v_subrev_nc_u32_e32 v12, s3, v7
	global_load_b64 v[6:7], v12, s[8:9] scale_offset
	global_load_b64 v[8:9], v10, s[4:5] scale_offset
	s_wait_loadcnt 0x3
	s_wait_xcnt 0x0
	v_subrev_nc_u32_e32 v10, s3, v11
	global_load_b64 v[10:11], v10, s[8:9] scale_offset
	s_wait_loadcnt 0x2
	v_pk_fma_f32 v[2:3], v[6:7], v[4:5], v[2:3] op_sel_hi:[1,0,1]
	s_delay_alu instid0(VALU_DEP_1) | instskip(SKIP_1) | instid1(VALU_DEP_1)
	v_pk_fma_f32 v[2:3], v[6:7], v[4:5], v[2:3] op_sel:[1,1,0] op_sel_hi:[0,1,1] neg_lo:[1,0,0]
	s_wait_loadcnt 0x0
	v_pk_fma_f32 v[2:3], v[10:11], v[8:9], v[2:3] op_sel_hi:[1,0,1]
	s_delay_alu instid0(VALU_DEP_1)
	v_pk_fma_f32 v[2:3], v[10:11], v[8:9], v[2:3] op_sel:[1,1,0] op_sel_hi:[0,1,1] neg_lo:[1,0,0]
	s_cbranch_scc1 .LBB6_2
	s_branch .LBB6_4
.LBB6_3:
	v_mov_b64_e32 v[2:3], 0
	s_mov_b32 s14, s1
.LBB6_4:
	v_lshl_or_b32 v1, s0, 8, v0
	s_delay_alu instid0(VALU_DEP_1) | instskip(SKIP_1) | instid1(VALU_DEP_1)
	v_subrev_nc_u32_e32 v1, s1, v1
	s_mov_b32 s1, exec_lo
	v_add_nc_u32_e32 v1, s14, v1
	s_delay_alu instid0(VALU_DEP_1)
	v_cmpx_gt_i32_e64 s2, v1
	s_cbranch_execz .LBB6_8
; %bb.5:
	s_lshl_b32 s13, s12, 8
	s_mov_b32 s12, 0
.LBB6_6:                                ; =>This Inner Loop Header: Depth=1
	s_clause 0x1
	global_load_b32 v6, v1, s[6:7] scale_offset
	global_load_b64 v[4:5], v1, s[4:5] scale_offset
	s_wait_xcnt 0x0
	v_add_nc_u32_e32 v1, s13, v1
	s_delay_alu instid0(VALU_DEP_1)
	v_cmp_le_i32_e32 vcc_lo, s2, v1
	s_or_b32 s12, vcc_lo, s12
	s_wait_loadcnt 0x1
	v_subrev_nc_u32_e32 v6, s3, v6
	global_load_b64 v[6:7], v6, s[8:9] scale_offset
	s_wait_loadcnt 0x0
	v_pk_fma_f32 v[2:3], v[6:7], v[4:5], v[2:3] op_sel_hi:[1,0,1]
	s_delay_alu instid0(VALU_DEP_1)
	v_pk_fma_f32 v[2:3], v[6:7], v[4:5], v[2:3] op_sel:[1,1,0] op_sel_hi:[0,1,1] neg_lo:[1,0,0]
	s_and_not1_b32 exec_lo, exec_lo, s12
	s_cbranch_execnz .LBB6_6
; %bb.7:
	s_or_b32 exec_lo, exec_lo, s12
.LBB6_8:
	s_delay_alu instid0(SALU_CYCLE_1)
	s_or_b32 exec_lo, exec_lo, s1
	v_lshlrev_b32_e32 v1, 3, v0
	s_mov_b32 s1, exec_lo
	ds_store_b64 v1, v[2:3]
	s_wait_dscnt 0x0
	s_barrier_signal -1
	s_barrier_wait -1
	v_cmpx_gt_u32_e32 0x80, v0
	s_cbranch_execz .LBB6_10
; %bb.9:
	ds_load_2addr_stride64_b64 v[2:5], v1 offset1:2
	s_wait_dscnt 0x0
	v_pk_add_f32 v[2:3], v[4:5], v[2:3]
	ds_store_b64 v1, v[2:3]
.LBB6_10:
	s_or_b32 exec_lo, exec_lo, s1
	s_delay_alu instid0(SALU_CYCLE_1)
	s_mov_b32 s1, exec_lo
	s_wait_dscnt 0x0
	s_barrier_signal -1
	s_barrier_wait -1
	v_cmpx_gt_u32_e32 64, v0
	s_cbranch_execz .LBB6_12
; %bb.11:
	ds_load_2addr_stride64_b64 v[2:5], v1 offset1:1
	s_wait_dscnt 0x0
	v_pk_add_f32 v[2:3], v[4:5], v[2:3]
	ds_store_b64 v1, v[2:3]
.LBB6_12:
	s_or_b32 exec_lo, exec_lo, s1
	s_delay_alu instid0(SALU_CYCLE_1)
	s_mov_b32 s1, exec_lo
	s_wait_dscnt 0x0
	s_barrier_signal -1
	s_barrier_wait -1
	v_cmpx_gt_u32_e32 32, v0
	s_cbranch_execz .LBB6_14
; %bb.13:
	ds_load_2addr_b64 v[2:5], v1 offset1:32
	s_wait_dscnt 0x0
	v_pk_add_f32 v[2:3], v[4:5], v[2:3]
	ds_store_b64 v1, v[2:3]
.LBB6_14:
	s_or_b32 exec_lo, exec_lo, s1
	s_delay_alu instid0(SALU_CYCLE_1)
	s_mov_b32 s1, exec_lo
	s_wait_dscnt 0x0
	s_barrier_signal -1
	s_barrier_wait -1
	v_cmpx_gt_u32_e32 16, v0
	s_cbranch_execz .LBB6_16
; %bb.15:
	ds_load_2addr_b64 v[2:5], v1 offset1:16
	s_wait_dscnt 0x0
	v_pk_add_f32 v[2:3], v[4:5], v[2:3]
	ds_store_b64 v1, v[2:3]
.LBB6_16:
	;; [unrolled: 14-line block ×5, first 2 shown]
	s_or_b32 exec_lo, exec_lo, s1
	v_cmp_eq_u32_e32 vcc_lo, 0, v0
	s_wait_dscnt 0x0
	s_barrier_signal -1
	s_barrier_wait -1
	s_and_saveexec_b32 s1, vcc_lo
	s_cbranch_execz .LBB6_24
; %bb.23:
	v_mov_b32_e32 v4, 0
	ds_load_2addr_b64 v[0:3], v4 offset1:1
	s_wait_dscnt 0x0
	v_pk_add_f32 v[0:1], v[2:3], v[0:1]
	ds_store_b64 v4, v[0:1]
.LBB6_24:
	s_or_b32 exec_lo, exec_lo, s1
	s_wait_dscnt 0x0
	s_barrier_signal -1
	s_barrier_wait -1
	s_and_saveexec_b32 s1, vcc_lo
	s_cbranch_execz .LBB6_26
; %bb.25:
	v_dual_mov_b32 v0, 0 :: v_dual_mov_b32 v2, s0
	ds_load_b64 v[0:1], v0
	s_wait_dscnt 0x0
	global_store_b64 v2, v[0:1], s[10:11] scale_offset
.LBB6_26:
	s_endpgm
	.section	.rodata,"a",@progbits
	.p2align	6, 0x0
	.amdhsa_kernel _ZN9rocsparseL17doti_kernel_part1ILj256ELj2Ei21rocsparse_complex_numIfES2_S2_EEvT1_PKT2_PKS3_PKT3_PT4_21rocsparse_index_base_
		.amdhsa_group_segment_fixed_size 2048
		.amdhsa_private_segment_fixed_size 0
		.amdhsa_kernarg_size 304
		.amdhsa_user_sgpr_count 2
		.amdhsa_user_sgpr_dispatch_ptr 0
		.amdhsa_user_sgpr_queue_ptr 0
		.amdhsa_user_sgpr_kernarg_segment_ptr 1
		.amdhsa_user_sgpr_dispatch_id 0
		.amdhsa_user_sgpr_kernarg_preload_length 0
		.amdhsa_user_sgpr_kernarg_preload_offset 0
		.amdhsa_user_sgpr_private_segment_size 0
		.amdhsa_wavefront_size32 1
		.amdhsa_uses_dynamic_stack 0
		.amdhsa_enable_private_segment 0
		.amdhsa_system_sgpr_workgroup_id_x 1
		.amdhsa_system_sgpr_workgroup_id_y 0
		.amdhsa_system_sgpr_workgroup_id_z 0
		.amdhsa_system_sgpr_workgroup_info 0
		.amdhsa_system_vgpr_workitem_id 0
		.amdhsa_next_free_vgpr 13
		.amdhsa_next_free_sgpr 15
		.amdhsa_named_barrier_count 0
		.amdhsa_reserve_vcc 1
		.amdhsa_float_round_mode_32 0
		.amdhsa_float_round_mode_16_64 0
		.amdhsa_float_denorm_mode_32 3
		.amdhsa_float_denorm_mode_16_64 3
		.amdhsa_fp16_overflow 0
		.amdhsa_memory_ordered 1
		.amdhsa_forward_progress 1
		.amdhsa_inst_pref_size 8
		.amdhsa_round_robin_scheduling 0
		.amdhsa_exception_fp_ieee_invalid_op 0
		.amdhsa_exception_fp_denorm_src 0
		.amdhsa_exception_fp_ieee_div_zero 0
		.amdhsa_exception_fp_ieee_overflow 0
		.amdhsa_exception_fp_ieee_underflow 0
		.amdhsa_exception_fp_ieee_inexact 0
		.amdhsa_exception_int_div_zero 0
	.end_amdhsa_kernel
	.section	.text._ZN9rocsparseL17doti_kernel_part1ILj256ELj2Ei21rocsparse_complex_numIfES2_S2_EEvT1_PKT2_PKS3_PKT3_PT4_21rocsparse_index_base_,"axG",@progbits,_ZN9rocsparseL17doti_kernel_part1ILj256ELj2Ei21rocsparse_complex_numIfES2_S2_EEvT1_PKT2_PKS3_PKT3_PT4_21rocsparse_index_base_,comdat
.Lfunc_end6:
	.size	_ZN9rocsparseL17doti_kernel_part1ILj256ELj2Ei21rocsparse_complex_numIfES2_S2_EEvT1_PKT2_PKS3_PKT3_PT4_21rocsparse_index_base_, .Lfunc_end6-_ZN9rocsparseL17doti_kernel_part1ILj256ELj2Ei21rocsparse_complex_numIfES2_S2_EEvT1_PKT2_PKS3_PKT3_PT4_21rocsparse_index_base_
                                        ; -- End function
	.set _ZN9rocsparseL17doti_kernel_part1ILj256ELj2Ei21rocsparse_complex_numIfES2_S2_EEvT1_PKT2_PKS3_PKT3_PT4_21rocsparse_index_base_.num_vgpr, 13
	.set _ZN9rocsparseL17doti_kernel_part1ILj256ELj2Ei21rocsparse_complex_numIfES2_S2_EEvT1_PKT2_PKS3_PKT3_PT4_21rocsparse_index_base_.num_agpr, 0
	.set _ZN9rocsparseL17doti_kernel_part1ILj256ELj2Ei21rocsparse_complex_numIfES2_S2_EEvT1_PKT2_PKS3_PKT3_PT4_21rocsparse_index_base_.numbered_sgpr, 15
	.set _ZN9rocsparseL17doti_kernel_part1ILj256ELj2Ei21rocsparse_complex_numIfES2_S2_EEvT1_PKT2_PKS3_PKT3_PT4_21rocsparse_index_base_.num_named_barrier, 0
	.set _ZN9rocsparseL17doti_kernel_part1ILj256ELj2Ei21rocsparse_complex_numIfES2_S2_EEvT1_PKT2_PKS3_PKT3_PT4_21rocsparse_index_base_.private_seg_size, 0
	.set _ZN9rocsparseL17doti_kernel_part1ILj256ELj2Ei21rocsparse_complex_numIfES2_S2_EEvT1_PKT2_PKS3_PKT3_PT4_21rocsparse_index_base_.uses_vcc, 1
	.set _ZN9rocsparseL17doti_kernel_part1ILj256ELj2Ei21rocsparse_complex_numIfES2_S2_EEvT1_PKT2_PKS3_PKT3_PT4_21rocsparse_index_base_.uses_flat_scratch, 0
	.set _ZN9rocsparseL17doti_kernel_part1ILj256ELj2Ei21rocsparse_complex_numIfES2_S2_EEvT1_PKT2_PKS3_PKT3_PT4_21rocsparse_index_base_.has_dyn_sized_stack, 0
	.set _ZN9rocsparseL17doti_kernel_part1ILj256ELj2Ei21rocsparse_complex_numIfES2_S2_EEvT1_PKT2_PKS3_PKT3_PT4_21rocsparse_index_base_.has_recursion, 0
	.set _ZN9rocsparseL17doti_kernel_part1ILj256ELj2Ei21rocsparse_complex_numIfES2_S2_EEvT1_PKT2_PKS3_PKT3_PT4_21rocsparse_index_base_.has_indirect_call, 0
	.section	.AMDGPU.csdata,"",@progbits
; Kernel info:
; codeLenInByte = 1024
; TotalNumSgprs: 17
; NumVgprs: 13
; ScratchSize: 0
; MemoryBound: 0
; FloatMode: 240
; IeeeMode: 1
; LDSByteSize: 2048 bytes/workgroup (compile time only)
; SGPRBlocks: 0
; VGPRBlocks: 0
; NumSGPRsForWavesPerEU: 17
; NumVGPRsForWavesPerEU: 13
; NamedBarCnt: 0
; Occupancy: 16
; WaveLimiterHint : 1
; COMPUTE_PGM_RSRC2:SCRATCH_EN: 0
; COMPUTE_PGM_RSRC2:USER_SGPR: 2
; COMPUTE_PGM_RSRC2:TRAP_HANDLER: 0
; COMPUTE_PGM_RSRC2:TGID_X_EN: 1
; COMPUTE_PGM_RSRC2:TGID_Y_EN: 0
; COMPUTE_PGM_RSRC2:TGID_Z_EN: 0
; COMPUTE_PGM_RSRC2:TIDIG_COMP_CNT: 0
	.section	.text._ZN9rocsparseL17doti_kernel_part2ILj256E21rocsparse_complex_numIfEEEvPT0_S4_,"axG",@progbits,_ZN9rocsparseL17doti_kernel_part2ILj256E21rocsparse_complex_numIfEEEvPT0_S4_,comdat
	.globl	_ZN9rocsparseL17doti_kernel_part2ILj256E21rocsparse_complex_numIfEEEvPT0_S4_ ; -- Begin function _ZN9rocsparseL17doti_kernel_part2ILj256E21rocsparse_complex_numIfEEEvPT0_S4_
	.p2align	8
	.type	_ZN9rocsparseL17doti_kernel_part2ILj256E21rocsparse_complex_numIfEEEvPT0_S4_,@function
_ZN9rocsparseL17doti_kernel_part2ILj256E21rocsparse_complex_numIfEEEvPT0_S4_: ; @_ZN9rocsparseL17doti_kernel_part2ILj256E21rocsparse_complex_numIfEEEvPT0_S4_
; %bb.0:
	s_load_b128 s[0:3], s[0:1], 0x0
	v_lshlrev_b32_e32 v1, 3, v0
	s_mov_b32 s4, exec_lo
	s_wait_kmcnt 0x0
	global_load_b64 v[2:3], v0, s[0:1] scale_offset
	s_wait_loadcnt 0x0
	ds_store_b64 v1, v[2:3]
	s_wait_dscnt 0x0
	s_barrier_signal -1
	s_barrier_wait -1
	v_cmpx_gt_u32_e32 0x80, v0
	s_cbranch_execz .LBB7_2
; %bb.1:
	ds_load_2addr_stride64_b64 v[2:5], v1 offset1:2
	s_wait_dscnt 0x0
	v_pk_add_f32 v[2:3], v[4:5], v[2:3]
	ds_store_b64 v1, v[2:3]
.LBB7_2:
	s_or_b32 exec_lo, exec_lo, s4
	s_delay_alu instid0(SALU_CYCLE_1)
	s_mov_b32 s4, exec_lo
	s_wait_dscnt 0x0
	s_barrier_signal -1
	s_barrier_wait -1
	v_cmpx_gt_u32_e32 64, v0
	s_cbranch_execz .LBB7_4
; %bb.3:
	ds_load_2addr_stride64_b64 v[2:5], v1 offset1:1
	s_wait_dscnt 0x0
	v_pk_add_f32 v[2:3], v[4:5], v[2:3]
	ds_store_b64 v1, v[2:3]
.LBB7_4:
	s_or_b32 exec_lo, exec_lo, s4
	s_delay_alu instid0(SALU_CYCLE_1)
	s_mov_b32 s4, exec_lo
	s_wait_dscnt 0x0
	s_barrier_signal -1
	s_barrier_wait -1
	v_cmpx_gt_u32_e32 32, v0
	s_cbranch_execz .LBB7_6
; %bb.5:
	ds_load_2addr_b64 v[2:5], v1 offset1:32
	s_wait_dscnt 0x0
	v_pk_add_f32 v[2:3], v[4:5], v[2:3]
	ds_store_b64 v1, v[2:3]
.LBB7_6:
	s_or_b32 exec_lo, exec_lo, s4
	s_delay_alu instid0(SALU_CYCLE_1)
	s_mov_b32 s4, exec_lo
	s_wait_dscnt 0x0
	s_barrier_signal -1
	s_barrier_wait -1
	v_cmpx_gt_u32_e32 16, v0
	s_cbranch_execz .LBB7_8
; %bb.7:
	ds_load_2addr_b64 v[2:5], v1 offset1:16
	s_wait_dscnt 0x0
	v_pk_add_f32 v[2:3], v[4:5], v[2:3]
	ds_store_b64 v1, v[2:3]
.LBB7_8:
	s_or_b32 exec_lo, exec_lo, s4
	s_delay_alu instid0(SALU_CYCLE_1)
	s_mov_b32 s4, exec_lo
	s_wait_dscnt 0x0
	s_barrier_signal -1
	s_barrier_wait -1
	v_cmpx_gt_u32_e32 8, v0
	s_cbranch_execz .LBB7_10
; %bb.9:
	ds_load_2addr_b64 v[2:5], v1 offset1:8
	s_wait_dscnt 0x0
	v_pk_add_f32 v[2:3], v[4:5], v[2:3]
	ds_store_b64 v1, v[2:3]
.LBB7_10:
	s_or_b32 exec_lo, exec_lo, s4
	s_delay_alu instid0(SALU_CYCLE_1)
	s_mov_b32 s4, exec_lo
	s_wait_dscnt 0x0
	s_barrier_signal -1
	s_barrier_wait -1
	v_cmpx_gt_u32_e32 4, v0
	s_cbranch_execz .LBB7_12
; %bb.11:
	ds_load_2addr_b64 v[2:5], v1 offset1:4
	s_wait_dscnt 0x0
	v_pk_add_f32 v[2:3], v[4:5], v[2:3]
	ds_store_b64 v1, v[2:3]
.LBB7_12:
	s_or_b32 exec_lo, exec_lo, s4
	s_delay_alu instid0(SALU_CYCLE_1)
	s_mov_b32 s4, exec_lo
	s_wait_dscnt 0x0
	s_barrier_signal -1
	s_barrier_wait -1
	v_cmpx_gt_u32_e32 2, v0
	s_cbranch_execz .LBB7_14
; %bb.13:
	ds_load_2addr_b64 v[2:5], v1 offset1:2
	s_wait_dscnt 0x0
	v_pk_add_f32 v[2:3], v[4:5], v[2:3]
	ds_store_b64 v1, v[2:3]
.LBB7_14:
	s_or_b32 exec_lo, exec_lo, s4
	v_cmp_eq_u32_e32 vcc_lo, 0, v0
	s_wait_dscnt 0x0
	s_barrier_signal -1
	s_barrier_wait -1
	s_and_saveexec_b32 s4, vcc_lo
	s_cbranch_execz .LBB7_16
; %bb.15:
	v_mov_b32_e32 v4, 0
	ds_load_2addr_b64 v[0:3], v4 offset1:1
	s_wait_dscnt 0x0
	v_pk_add_f32 v[0:1], v[2:3], v[0:1]
	ds_store_b64 v4, v[0:1]
.LBB7_16:
	s_or_b32 exec_lo, exec_lo, s4
	s_wait_dscnt 0x0
	s_barrier_signal -1
	s_barrier_wait -1
	s_and_saveexec_b32 s4, vcc_lo
	s_cbranch_execz .LBB7_18
; %bb.17:
	v_mov_b32_e32 v2, 0
	s_cmp_eq_u64 s[2:3], 0
	s_cselect_b32 s1, s1, s3
	s_cselect_b32 s0, s0, s2
	ds_load_b64 v[0:1], v2
	s_wait_dscnt 0x0
	global_store_b64 v2, v[0:1], s[0:1]
.LBB7_18:
	s_endpgm
	.section	.rodata,"a",@progbits
	.p2align	6, 0x0
	.amdhsa_kernel _ZN9rocsparseL17doti_kernel_part2ILj256E21rocsparse_complex_numIfEEEvPT0_S4_
		.amdhsa_group_segment_fixed_size 2048
		.amdhsa_private_segment_fixed_size 0
		.amdhsa_kernarg_size 16
		.amdhsa_user_sgpr_count 2
		.amdhsa_user_sgpr_dispatch_ptr 0
		.amdhsa_user_sgpr_queue_ptr 0
		.amdhsa_user_sgpr_kernarg_segment_ptr 1
		.amdhsa_user_sgpr_dispatch_id 0
		.amdhsa_user_sgpr_kernarg_preload_length 0
		.amdhsa_user_sgpr_kernarg_preload_offset 0
		.amdhsa_user_sgpr_private_segment_size 0
		.amdhsa_wavefront_size32 1
		.amdhsa_uses_dynamic_stack 0
		.amdhsa_enable_private_segment 0
		.amdhsa_system_sgpr_workgroup_id_x 1
		.amdhsa_system_sgpr_workgroup_id_y 0
		.amdhsa_system_sgpr_workgroup_id_z 0
		.amdhsa_system_sgpr_workgroup_info 0
		.amdhsa_system_vgpr_workitem_id 0
		.amdhsa_next_free_vgpr 6
		.amdhsa_next_free_sgpr 5
		.amdhsa_named_barrier_count 0
		.amdhsa_reserve_vcc 1
		.amdhsa_float_round_mode_32 0
		.amdhsa_float_round_mode_16_64 0
		.amdhsa_float_denorm_mode_32 3
		.amdhsa_float_denorm_mode_16_64 3
		.amdhsa_fp16_overflow 0
		.amdhsa_memory_ordered 1
		.amdhsa_forward_progress 1
		.amdhsa_inst_pref_size 5
		.amdhsa_round_robin_scheduling 0
		.amdhsa_exception_fp_ieee_invalid_op 0
		.amdhsa_exception_fp_denorm_src 0
		.amdhsa_exception_fp_ieee_div_zero 0
		.amdhsa_exception_fp_ieee_overflow 0
		.amdhsa_exception_fp_ieee_underflow 0
		.amdhsa_exception_fp_ieee_inexact 0
		.amdhsa_exception_int_div_zero 0
	.end_amdhsa_kernel
	.section	.text._ZN9rocsparseL17doti_kernel_part2ILj256E21rocsparse_complex_numIfEEEvPT0_S4_,"axG",@progbits,_ZN9rocsparseL17doti_kernel_part2ILj256E21rocsparse_complex_numIfEEEvPT0_S4_,comdat
.Lfunc_end7:
	.size	_ZN9rocsparseL17doti_kernel_part2ILj256E21rocsparse_complex_numIfEEEvPT0_S4_, .Lfunc_end7-_ZN9rocsparseL17doti_kernel_part2ILj256E21rocsparse_complex_numIfEEEvPT0_S4_
                                        ; -- End function
	.set _ZN9rocsparseL17doti_kernel_part2ILj256E21rocsparse_complex_numIfEEEvPT0_S4_.num_vgpr, 6
	.set _ZN9rocsparseL17doti_kernel_part2ILj256E21rocsparse_complex_numIfEEEvPT0_S4_.num_agpr, 0
	.set _ZN9rocsparseL17doti_kernel_part2ILj256E21rocsparse_complex_numIfEEEvPT0_S4_.numbered_sgpr, 5
	.set _ZN9rocsparseL17doti_kernel_part2ILj256E21rocsparse_complex_numIfEEEvPT0_S4_.num_named_barrier, 0
	.set _ZN9rocsparseL17doti_kernel_part2ILj256E21rocsparse_complex_numIfEEEvPT0_S4_.private_seg_size, 0
	.set _ZN9rocsparseL17doti_kernel_part2ILj256E21rocsparse_complex_numIfEEEvPT0_S4_.uses_vcc, 1
	.set _ZN9rocsparseL17doti_kernel_part2ILj256E21rocsparse_complex_numIfEEEvPT0_S4_.uses_flat_scratch, 0
	.set _ZN9rocsparseL17doti_kernel_part2ILj256E21rocsparse_complex_numIfEEEvPT0_S4_.has_dyn_sized_stack, 0
	.set _ZN9rocsparseL17doti_kernel_part2ILj256E21rocsparse_complex_numIfEEEvPT0_S4_.has_recursion, 0
	.set _ZN9rocsparseL17doti_kernel_part2ILj256E21rocsparse_complex_numIfEEEvPT0_S4_.has_indirect_call, 0
	.section	.AMDGPU.csdata,"",@progbits
; Kernel info:
; codeLenInByte = 584
; TotalNumSgprs: 7
; NumVgprs: 6
; ScratchSize: 0
; MemoryBound: 0
; FloatMode: 240
; IeeeMode: 1
; LDSByteSize: 2048 bytes/workgroup (compile time only)
; SGPRBlocks: 0
; VGPRBlocks: 0
; NumSGPRsForWavesPerEU: 7
; NumVGPRsForWavesPerEU: 6
; NamedBarCnt: 0
; Occupancy: 16
; WaveLimiterHint : 0
; COMPUTE_PGM_RSRC2:SCRATCH_EN: 0
; COMPUTE_PGM_RSRC2:USER_SGPR: 2
; COMPUTE_PGM_RSRC2:TRAP_HANDLER: 0
; COMPUTE_PGM_RSRC2:TGID_X_EN: 1
; COMPUTE_PGM_RSRC2:TGID_Y_EN: 0
; COMPUTE_PGM_RSRC2:TGID_Z_EN: 0
; COMPUTE_PGM_RSRC2:TIDIG_COMP_CNT: 0
	.section	.text._ZN9rocsparseL17doti_kernel_part1ILj256ELj2El21rocsparse_complex_numIfES2_S2_EEvT1_PKT2_PKS3_PKT3_PT4_21rocsparse_index_base_,"axG",@progbits,_ZN9rocsparseL17doti_kernel_part1ILj256ELj2El21rocsparse_complex_numIfES2_S2_EEvT1_PKT2_PKS3_PKT3_PT4_21rocsparse_index_base_,comdat
	.globl	_ZN9rocsparseL17doti_kernel_part1ILj256ELj2El21rocsparse_complex_numIfES2_S2_EEvT1_PKT2_PKS3_PKT3_PT4_21rocsparse_index_base_ ; -- Begin function _ZN9rocsparseL17doti_kernel_part1ILj256ELj2El21rocsparse_complex_numIfES2_S2_EEvT1_PKT2_PKS3_PKT3_PT4_21rocsparse_index_base_
	.p2align	8
	.type	_ZN9rocsparseL17doti_kernel_part1ILj256ELj2El21rocsparse_complex_numIfES2_S2_EEvT1_PKT2_PKS3_PKT3_PT4_21rocsparse_index_base_,@function
_ZN9rocsparseL17doti_kernel_part1ILj256ELj2El21rocsparse_complex_numIfES2_S2_EEvT1_PKT2_PKS3_PKT3_PT4_21rocsparse_index_base_: ; @_ZN9rocsparseL17doti_kernel_part1ILj256ELj2El21rocsparse_complex_numIfES2_S2_EEvT1_PKT2_PKS3_PKT3_PT4_21rocsparse_index_base_
; %bb.0:
	s_clause 0x2
	s_load_b32 s21, s[0:1], 0x30
	s_load_b256 s[4:11], s[0:1], 0x0
	s_load_b96 s[12:14], s[0:1], 0x20
	s_wait_xcnt 0x0
	s_bfe_u32 s0, ttmp6, 0x4000c
	s_and_b32 s1, ttmp6, 15
	s_add_co_i32 s0, s0, 1
	s_getreg_b32 s2, hwreg(HW_REG_IB_STS2, 6, 4)
	s_mul_i32 s0, ttmp9, s0
	s_mov_b32 s3, 0
	s_add_co_i32 s1, s1, s0
	s_cmp_eq_u32 s2, 0
	v_mov_b32_e32 v5, 0
	s_cselect_b32 s20, ttmp9, s1
	s_delay_alu instid0(SALU_CYCLE_1) | instskip(NEXT) | instid1(SALU_CYCLE_1)
	s_lshl_b32 s1, s20, 8
	v_or_b32_e32 v4, s1, v0
	s_wait_kmcnt 0x0
	s_lshl_b32 s2, s21, 9
	s_delay_alu instid0(SALU_CYCLE_1)
	v_cmp_le_i64_e64 s0, s[4:5], s[2:3]
	s_and_b32 vcc_lo, exec_lo, s0
	s_mov_b32 s0, s14
	s_cbranch_vccnz .LBB8_3
; %bb.1:
	v_dual_mov_b32 v3, v5 :: v_dual_add_nc_u32 v2, s1, v4
	s_mov_b32 s1, s3
	s_lshl_b64 s[16:17], s[2:3], 3
	s_add_nc_u64 s[18:19], s[8:9], 0x800
	s_mov_b64 s[14:15], s[2:3]
	v_lshlrev_b64_e32 v[6:7], 3, v[2:3]
	v_mov_b32_e32 v2, v5
.LBB8_2:                                ; =>This Inner Loop Header: Depth=1
	s_delay_alu instid0(VALU_DEP_2)
	v_add_nc_u64_e32 v[8:9], s[18:19], v[6:7]
	s_add_nc_u64 s[14:15], s[14:15], s[2:3]
	s_clause 0x1
	global_load_b64 v[10:11], v[8:9], off offset:-2048
	global_load_b64 v[12:13], v[8:9], off
	v_cmp_lt_i64_e64 s22, s[14:15], s[4:5]
	s_and_b32 vcc_lo, exec_lo, s22
	s_wait_loadcnt 0x1
	s_wait_xcnt 0x0
	v_sub_nc_u64_e64 v[8:9], v[10:11], s[0:1]
	v_add_nc_u64_e32 v[10:11], s[6:7], v[6:7]
	s_wait_loadcnt 0x0
	v_sub_nc_u64_e64 v[12:13], v[12:13], s[0:1]
	v_add_nc_u64_e32 v[6:7], s[16:17], v[6:7]
	s_delay_alu instid0(VALU_DEP_4)
	v_lshl_add_u64 v[8:9], v[8:9], 3, s[10:11]
	global_load_b64 v[14:15], v[10:11], off
	v_lshl_add_u64 v[12:13], v[12:13], 3, s[10:11]
	global_load_b64 v[8:9], v[8:9], off
	global_load_b64 v[16:17], v[10:11], off offset:2048
	global_load_b64 v[18:19], v[12:13], off
	s_wait_loadcnt 0x2
	v_pk_fma_f32 v[2:3], v[8:9], v[14:15], v[2:3] op_sel_hi:[1,0,1]
	s_delay_alu instid0(VALU_DEP_1) | instskip(SKIP_1) | instid1(VALU_DEP_1)
	v_pk_fma_f32 v[2:3], v[8:9], v[14:15], v[2:3] op_sel:[1,1,0] op_sel_hi:[0,1,1] neg_lo:[1,0,0]
	s_wait_loadcnt 0x0
	v_pk_fma_f32 v[2:3], v[18:19], v[16:17], v[2:3] op_sel_hi:[1,0,1]
	s_delay_alu instid0(VALU_DEP_1)
	v_pk_fma_f32 v[2:3], v[18:19], v[16:17], v[2:3] op_sel:[1,1,0] op_sel_hi:[0,1,1] neg_lo:[1,0,0]
	s_cbranch_vccnz .LBB8_2
	s_branch .LBB8_4
.LBB8_3:
	v_mov_b64_e32 v[2:3], 0
	s_mov_b64 s[14:15], s[2:3]
.LBB8_4:
	v_sub_nc_u64_e64 v[4:5], v[4:5], s[2:3]
	s_mov_b32 s16, exec_lo
	s_delay_alu instid0(VALU_DEP_1) | instskip(NEXT) | instid1(VALU_DEP_1)
	v_add_nc_u64_e32 v[4:5], s[14:15], v[4:5]
	v_cmpx_gt_i64_e64 s[4:5], v[4:5]
	s_cbranch_execz .LBB8_8
; %bb.5:
	v_lshlrev_b64_e32 v[6:7], 3, v[4:5]
	s_mov_b32 s1, 0
	s_lshl_b32 s2, s21, 8
	s_mov_b32 s3, s1
	s_add_nc_u64 s[6:7], s[6:7], 4
	s_lshl_b64 s[14:15], s[2:3], 3
	s_mov_b32 s17, s1
.LBB8_6:                                ; =>This Inner Loop Header: Depth=1
	v_add_nc_u64_e32 v[8:9], s[8:9], v[6:7]
	v_add_nc_u64_e32 v[10:11], s[6:7], v[6:7]
	;; [unrolled: 1-line block ×4, first 2 shown]
	global_load_b64 v[8:9], v[8:9], off
	v_cmp_le_i64_e32 vcc_lo, s[4:5], v[4:5]
	s_or_b32 s17, vcc_lo, s17
	s_wait_loadcnt 0x0
	v_sub_nc_u64_e64 v[8:9], v[8:9], s[0:1]
	s_delay_alu instid0(VALU_DEP_1) | instskip(SKIP_4) | instid1(VALU_DEP_1)
	v_lshl_add_u64 v[8:9], v[8:9], 3, s[10:11]
	global_load_b64 v[12:13], v[10:11], off offset:-4
	global_load_b64 v[14:15], v[8:9], off
	s_wait_loadcnt 0x0
	v_pk_fma_f32 v[2:3], v[14:15], v[12:13], v[2:3] op_sel_hi:[1,0,1]
	v_pk_fma_f32 v[2:3], v[14:15], v[12:13], v[2:3] op_sel:[1,1,0] op_sel_hi:[0,1,1] neg_lo:[1,0,0]
	s_and_not1_b32 exec_lo, exec_lo, s17
	s_cbranch_execnz .LBB8_6
; %bb.7:
	s_or_b32 exec_lo, exec_lo, s17
.LBB8_8:
	s_delay_alu instid0(SALU_CYCLE_1)
	s_or_b32 exec_lo, exec_lo, s16
	v_lshlrev_b32_e32 v1, 3, v0
	s_mov_b32 s0, exec_lo
	ds_store_b64 v1, v[2:3]
	s_wait_dscnt 0x0
	s_barrier_signal -1
	s_barrier_wait -1
	v_cmpx_gt_u32_e32 0x80, v0
	s_cbranch_execz .LBB8_10
; %bb.9:
	ds_load_2addr_stride64_b64 v[2:5], v1 offset1:2
	s_wait_dscnt 0x0
	v_pk_add_f32 v[2:3], v[4:5], v[2:3]
	ds_store_b64 v1, v[2:3]
.LBB8_10:
	s_or_b32 exec_lo, exec_lo, s0
	s_delay_alu instid0(SALU_CYCLE_1)
	s_mov_b32 s0, exec_lo
	s_wait_dscnt 0x0
	s_barrier_signal -1
	s_barrier_wait -1
	v_cmpx_gt_u32_e32 64, v0
	s_cbranch_execz .LBB8_12
; %bb.11:
	ds_load_2addr_stride64_b64 v[2:5], v1 offset1:1
	s_wait_dscnt 0x0
	v_pk_add_f32 v[2:3], v[4:5], v[2:3]
	ds_store_b64 v1, v[2:3]
.LBB8_12:
	s_or_b32 exec_lo, exec_lo, s0
	s_delay_alu instid0(SALU_CYCLE_1)
	s_mov_b32 s0, exec_lo
	s_wait_dscnt 0x0
	s_barrier_signal -1
	s_barrier_wait -1
	v_cmpx_gt_u32_e32 32, v0
	s_cbranch_execz .LBB8_14
; %bb.13:
	ds_load_2addr_b64 v[2:5], v1 offset1:32
	s_wait_dscnt 0x0
	v_pk_add_f32 v[2:3], v[4:5], v[2:3]
	ds_store_b64 v1, v[2:3]
.LBB8_14:
	s_or_b32 exec_lo, exec_lo, s0
	s_delay_alu instid0(SALU_CYCLE_1)
	s_mov_b32 s0, exec_lo
	s_wait_dscnt 0x0
	s_barrier_signal -1
	s_barrier_wait -1
	v_cmpx_gt_u32_e32 16, v0
	s_cbranch_execz .LBB8_16
; %bb.15:
	ds_load_2addr_b64 v[2:5], v1 offset1:16
	s_wait_dscnt 0x0
	v_pk_add_f32 v[2:3], v[4:5], v[2:3]
	ds_store_b64 v1, v[2:3]
.LBB8_16:
	;; [unrolled: 14-line block ×5, first 2 shown]
	s_or_b32 exec_lo, exec_lo, s0
	v_cmp_eq_u32_e32 vcc_lo, 0, v0
	s_wait_dscnt 0x0
	s_barrier_signal -1
	s_barrier_wait -1
	s_and_saveexec_b32 s0, vcc_lo
	s_cbranch_execz .LBB8_24
; %bb.23:
	v_mov_b32_e32 v4, 0
	ds_load_2addr_b64 v[0:3], v4 offset1:1
	s_wait_dscnt 0x0
	v_pk_add_f32 v[0:1], v[2:3], v[0:1]
	ds_store_b64 v4, v[0:1]
.LBB8_24:
	s_or_b32 exec_lo, exec_lo, s0
	s_wait_dscnt 0x0
	s_barrier_signal -1
	s_barrier_wait -1
	s_and_saveexec_b32 s0, vcc_lo
	s_cbranch_execz .LBB8_26
; %bb.25:
	v_dual_mov_b32 v0, 0 :: v_dual_mov_b32 v2, s20
	ds_load_b64 v[0:1], v0
	s_wait_dscnt 0x0
	global_store_b64 v2, v[0:1], s[12:13] scale_offset
.LBB8_26:
	s_endpgm
	.section	.rodata,"a",@progbits
	.p2align	6, 0x0
	.amdhsa_kernel _ZN9rocsparseL17doti_kernel_part1ILj256ELj2El21rocsparse_complex_numIfES2_S2_EEvT1_PKT2_PKS3_PKT3_PT4_21rocsparse_index_base_
		.amdhsa_group_segment_fixed_size 2048
		.amdhsa_private_segment_fixed_size 0
		.amdhsa_kernarg_size 304
		.amdhsa_user_sgpr_count 2
		.amdhsa_user_sgpr_dispatch_ptr 0
		.amdhsa_user_sgpr_queue_ptr 0
		.amdhsa_user_sgpr_kernarg_segment_ptr 1
		.amdhsa_user_sgpr_dispatch_id 0
		.amdhsa_user_sgpr_kernarg_preload_length 0
		.amdhsa_user_sgpr_kernarg_preload_offset 0
		.amdhsa_user_sgpr_private_segment_size 0
		.amdhsa_wavefront_size32 1
		.amdhsa_uses_dynamic_stack 0
		.amdhsa_enable_private_segment 0
		.amdhsa_system_sgpr_workgroup_id_x 1
		.amdhsa_system_sgpr_workgroup_id_y 0
		.amdhsa_system_sgpr_workgroup_id_z 0
		.amdhsa_system_sgpr_workgroup_info 0
		.amdhsa_system_vgpr_workitem_id 0
		.amdhsa_next_free_vgpr 20
		.amdhsa_next_free_sgpr 23
		.amdhsa_named_barrier_count 0
		.amdhsa_reserve_vcc 1
		.amdhsa_float_round_mode_32 0
		.amdhsa_float_round_mode_16_64 0
		.amdhsa_float_denorm_mode_32 3
		.amdhsa_float_denorm_mode_16_64 3
		.amdhsa_fp16_overflow 0
		.amdhsa_memory_ordered 1
		.amdhsa_forward_progress 1
		.amdhsa_inst_pref_size 9
		.amdhsa_round_robin_scheduling 0
		.amdhsa_exception_fp_ieee_invalid_op 0
		.amdhsa_exception_fp_denorm_src 0
		.amdhsa_exception_fp_ieee_div_zero 0
		.amdhsa_exception_fp_ieee_overflow 0
		.amdhsa_exception_fp_ieee_underflow 0
		.amdhsa_exception_fp_ieee_inexact 0
		.amdhsa_exception_int_div_zero 0
	.end_amdhsa_kernel
	.section	.text._ZN9rocsparseL17doti_kernel_part1ILj256ELj2El21rocsparse_complex_numIfES2_S2_EEvT1_PKT2_PKS3_PKT3_PT4_21rocsparse_index_base_,"axG",@progbits,_ZN9rocsparseL17doti_kernel_part1ILj256ELj2El21rocsparse_complex_numIfES2_S2_EEvT1_PKT2_PKS3_PKT3_PT4_21rocsparse_index_base_,comdat
.Lfunc_end8:
	.size	_ZN9rocsparseL17doti_kernel_part1ILj256ELj2El21rocsparse_complex_numIfES2_S2_EEvT1_PKT2_PKS3_PKT3_PT4_21rocsparse_index_base_, .Lfunc_end8-_ZN9rocsparseL17doti_kernel_part1ILj256ELj2El21rocsparse_complex_numIfES2_S2_EEvT1_PKT2_PKS3_PKT3_PT4_21rocsparse_index_base_
                                        ; -- End function
	.set _ZN9rocsparseL17doti_kernel_part1ILj256ELj2El21rocsparse_complex_numIfES2_S2_EEvT1_PKT2_PKS3_PKT3_PT4_21rocsparse_index_base_.num_vgpr, 20
	.set _ZN9rocsparseL17doti_kernel_part1ILj256ELj2El21rocsparse_complex_numIfES2_S2_EEvT1_PKT2_PKS3_PKT3_PT4_21rocsparse_index_base_.num_agpr, 0
	.set _ZN9rocsparseL17doti_kernel_part1ILj256ELj2El21rocsparse_complex_numIfES2_S2_EEvT1_PKT2_PKS3_PKT3_PT4_21rocsparse_index_base_.numbered_sgpr, 23
	.set _ZN9rocsparseL17doti_kernel_part1ILj256ELj2El21rocsparse_complex_numIfES2_S2_EEvT1_PKT2_PKS3_PKT3_PT4_21rocsparse_index_base_.num_named_barrier, 0
	.set _ZN9rocsparseL17doti_kernel_part1ILj256ELj2El21rocsparse_complex_numIfES2_S2_EEvT1_PKT2_PKS3_PKT3_PT4_21rocsparse_index_base_.private_seg_size, 0
	.set _ZN9rocsparseL17doti_kernel_part1ILj256ELj2El21rocsparse_complex_numIfES2_S2_EEvT1_PKT2_PKS3_PKT3_PT4_21rocsparse_index_base_.uses_vcc, 1
	.set _ZN9rocsparseL17doti_kernel_part1ILj256ELj2El21rocsparse_complex_numIfES2_S2_EEvT1_PKT2_PKS3_PKT3_PT4_21rocsparse_index_base_.uses_flat_scratch, 0
	.set _ZN9rocsparseL17doti_kernel_part1ILj256ELj2El21rocsparse_complex_numIfES2_S2_EEvT1_PKT2_PKS3_PKT3_PT4_21rocsparse_index_base_.has_dyn_sized_stack, 0
	.set _ZN9rocsparseL17doti_kernel_part1ILj256ELj2El21rocsparse_complex_numIfES2_S2_EEvT1_PKT2_PKS3_PKT3_PT4_21rocsparse_index_base_.has_recursion, 0
	.set _ZN9rocsparseL17doti_kernel_part1ILj256ELj2El21rocsparse_complex_numIfES2_S2_EEvT1_PKT2_PKS3_PKT3_PT4_21rocsparse_index_base_.has_indirect_call, 0
	.section	.AMDGPU.csdata,"",@progbits
; Kernel info:
; codeLenInByte = 1112
; TotalNumSgprs: 25
; NumVgprs: 20
; ScratchSize: 0
; MemoryBound: 0
; FloatMode: 240
; IeeeMode: 1
; LDSByteSize: 2048 bytes/workgroup (compile time only)
; SGPRBlocks: 0
; VGPRBlocks: 1
; NumSGPRsForWavesPerEU: 25
; NumVGPRsForWavesPerEU: 20
; NamedBarCnt: 0
; Occupancy: 16
; WaveLimiterHint : 1
; COMPUTE_PGM_RSRC2:SCRATCH_EN: 0
; COMPUTE_PGM_RSRC2:USER_SGPR: 2
; COMPUTE_PGM_RSRC2:TRAP_HANDLER: 0
; COMPUTE_PGM_RSRC2:TGID_X_EN: 1
; COMPUTE_PGM_RSRC2:TGID_Y_EN: 0
; COMPUTE_PGM_RSRC2:TGID_Z_EN: 0
; COMPUTE_PGM_RSRC2:TIDIG_COMP_CNT: 0
	.section	.text._ZN9rocsparseL17doti_kernel_part1ILj256ELj2Ei21rocsparse_complex_numIdES2_S2_EEvT1_PKT2_PKS3_PKT3_PT4_21rocsparse_index_base_,"axG",@progbits,_ZN9rocsparseL17doti_kernel_part1ILj256ELj2Ei21rocsparse_complex_numIdES2_S2_EEvT1_PKT2_PKS3_PKT3_PT4_21rocsparse_index_base_,comdat
	.globl	_ZN9rocsparseL17doti_kernel_part1ILj256ELj2Ei21rocsparse_complex_numIdES2_S2_EEvT1_PKT2_PKS3_PKT3_PT4_21rocsparse_index_base_ ; -- Begin function _ZN9rocsparseL17doti_kernel_part1ILj256ELj2Ei21rocsparse_complex_numIdES2_S2_EEvT1_PKT2_PKS3_PKT3_PT4_21rocsparse_index_base_
	.p2align	8
	.type	_ZN9rocsparseL17doti_kernel_part1ILj256ELj2Ei21rocsparse_complex_numIdES2_S2_EEvT1_PKT2_PKS3_PKT3_PT4_21rocsparse_index_base_,@function
_ZN9rocsparseL17doti_kernel_part1ILj256ELj2Ei21rocsparse_complex_numIdES2_S2_EEvT1_PKT2_PKS3_PKT3_PT4_21rocsparse_index_base_: ; @_ZN9rocsparseL17doti_kernel_part1ILj256ELj2Ei21rocsparse_complex_numIdES2_S2_EEvT1_PKT2_PKS3_PKT3_PT4_21rocsparse_index_base_
; %bb.0:
	s_clause 0x3
	s_load_b32 s12, s[0:1], 0x30
	s_load_b32 s2, s[0:1], 0x0
	;; [unrolled: 1-line block ×3, first 2 shown]
	s_load_b256 s[4:11], s[0:1], 0x8
	v_mov_b64_e32 v[2:3], 0
	s_wait_xcnt 0x0
	s_bfe_u32 s0, ttmp6, 0x4000c
	s_and_b32 s1, ttmp6, 15
	s_add_co_i32 s0, s0, 1
	s_getreg_b32 s13, hwreg(HW_REG_IB_STS2, 6, 4)
	s_mul_i32 s0, ttmp9, s0
	s_delay_alu instid0(SALU_CYCLE_1)
	s_add_co_i32 s1, s1, s0
	v_mov_b64_e32 v[4:5], v[2:3]
	s_cmp_eq_u32 s13, 0
	s_mov_b32 s13, 0
	s_cselect_b32 s0, ttmp9, s1
	s_wait_kmcnt 0x0
	s_lshl_b32 s1, s12, 9
	s_delay_alu instid0(SALU_CYCLE_1)
	s_cmp_ge_i32 s1, s2
	s_mov_b32 s14, s1
	s_cbranch_scc1 .LBB9_3
; %bb.1:
	v_mov_b64_e32 v[2:3], 0
	v_lshl_or_b32 v1, s0, 9, v0
	s_delay_alu instid0(VALU_DEP_2)
	v_mov_b64_e32 v[4:5], v[2:3]
.LBB9_2:                                ; =>This Inner Loop Header: Depth=1
	s_delay_alu instid0(VALU_DEP_2) | instskip(SKIP_1) | instid1(SALU_CYCLE_1)
	v_add_nc_u32_e32 v10, s13, v1
	s_add_co_i32 s13, s13, s1
	s_add_co_i32 s14, s1, s13
	s_delay_alu instid0(SALU_CYCLE_1)
	s_cmp_lt_i32 s14, s2
	global_load_b32 v11, v10, s[6:7] scale_offset
	v_add_nc_u32_e32 v18, 0x100, v10
	global_load_b32 v19, v18, s[6:7] scale_offset
	global_load_b128 v[6:9], v10, s[4:5] scale_offset
	s_wait_loadcnt 0x2
	v_subrev_nc_u32_e32 v20, s3, v11
	global_load_b128 v[10:13], v20, s[8:9] scale_offset
	global_load_b128 v[14:17], v18, s[4:5] scale_offset
	s_wait_loadcnt 0x3
	s_wait_xcnt 0x0
	v_subrev_nc_u32_e32 v18, s3, v19
	global_load_b128 v[18:21], v18, s[8:9] scale_offset
	s_wait_loadcnt 0x2
	v_fmac_f64_e32 v[2:3], v[10:11], v[6:7]
	v_fmac_f64_e32 v[4:5], v[12:13], v[6:7]
	s_delay_alu instid0(VALU_DEP_2) | instskip(NEXT) | instid1(VALU_DEP_2)
	v_fma_f64 v[2:3], -v[12:13], v[8:9], v[2:3]
	v_fmac_f64_e32 v[4:5], v[10:11], v[8:9]
	s_wait_loadcnt 0x0
	s_delay_alu instid0(VALU_DEP_2) | instskip(NEXT) | instid1(VALU_DEP_2)
	v_fmac_f64_e32 v[2:3], v[18:19], v[14:15]
	v_fmac_f64_e32 v[4:5], v[20:21], v[14:15]
	s_delay_alu instid0(VALU_DEP_2) | instskip(NEXT) | instid1(VALU_DEP_2)
	v_fma_f64 v[2:3], -v[20:21], v[16:17], v[2:3]
	v_fmac_f64_e32 v[4:5], v[18:19], v[16:17]
	s_cbranch_scc1 .LBB9_2
.LBB9_3:
	v_lshl_or_b32 v1, s0, 8, v0
	s_delay_alu instid0(VALU_DEP_1) | instskip(SKIP_1) | instid1(VALU_DEP_1)
	v_subrev_nc_u32_e32 v1, s1, v1
	s_mov_b32 s1, exec_lo
	v_add_nc_u32_e32 v1, s14, v1
	s_delay_alu instid0(VALU_DEP_1)
	v_cmpx_gt_i32_e64 s2, v1
	s_cbranch_execz .LBB9_7
; %bb.4:
	s_lshl_b32 s13, s12, 8
	s_mov_b32 s12, 0
.LBB9_5:                                ; =>This Inner Loop Header: Depth=1
	s_clause 0x1
	global_load_b32 v10, v1, s[6:7] scale_offset
	global_load_b128 v[6:9], v1, s[4:5] scale_offset
	s_wait_xcnt 0x0
	v_add_nc_u32_e32 v1, s13, v1
	s_delay_alu instid0(VALU_DEP_1)
	v_cmp_le_i32_e32 vcc_lo, s2, v1
	s_or_b32 s12, vcc_lo, s12
	s_wait_loadcnt 0x1
	v_subrev_nc_u32_e32 v10, s3, v10
	global_load_b128 v[10:13], v10, s[8:9] scale_offset
	s_wait_loadcnt 0x0
	v_fmac_f64_e32 v[2:3], v[10:11], v[6:7]
	v_fmac_f64_e32 v[4:5], v[12:13], v[6:7]
	s_delay_alu instid0(VALU_DEP_2) | instskip(NEXT) | instid1(VALU_DEP_2)
	v_fma_f64 v[2:3], -v[12:13], v[8:9], v[2:3]
	v_fmac_f64_e32 v[4:5], v[10:11], v[8:9]
	s_and_not1_b32 exec_lo, exec_lo, s12
	s_cbranch_execnz .LBB9_5
; %bb.6:
	s_or_b32 exec_lo, exec_lo, s12
.LBB9_7:
	s_delay_alu instid0(SALU_CYCLE_1)
	s_or_b32 exec_lo, exec_lo, s1
	v_lshlrev_b32_e32 v1, 4, v0
	s_mov_b32 s1, exec_lo
	ds_store_b128 v1, v[2:5]
	s_wait_dscnt 0x0
	s_barrier_signal -1
	s_barrier_wait -1
	v_cmpx_gt_u32_e32 0x80, v0
	s_cbranch_execz .LBB9_9
; %bb.8:
	ds_load_b128 v[2:5], v1 offset:2048
	ds_load_b128 v[6:9], v1
	s_wait_dscnt 0x0
	v_add_f64_e32 v[2:3], v[2:3], v[6:7]
	v_add_f64_e32 v[4:5], v[4:5], v[8:9]
	ds_store_b128 v1, v[2:5]
.LBB9_9:
	s_or_b32 exec_lo, exec_lo, s1
	s_delay_alu instid0(SALU_CYCLE_1)
	s_mov_b32 s1, exec_lo
	s_wait_dscnt 0x0
	s_barrier_signal -1
	s_barrier_wait -1
	v_cmpx_gt_u32_e32 64, v0
	s_cbranch_execz .LBB9_11
; %bb.10:
	ds_load_b128 v[2:5], v1 offset:1024
	ds_load_b128 v[6:9], v1
	s_wait_dscnt 0x0
	v_add_f64_e32 v[2:3], v[2:3], v[6:7]
	v_add_f64_e32 v[4:5], v[4:5], v[8:9]
	ds_store_b128 v1, v[2:5]
.LBB9_11:
	s_or_b32 exec_lo, exec_lo, s1
	s_delay_alu instid0(SALU_CYCLE_1)
	s_mov_b32 s1, exec_lo
	;; [unrolled: 16-line block ×6, first 2 shown]
	s_wait_dscnt 0x0
	s_barrier_signal -1
	s_barrier_wait -1
	v_cmpx_gt_u32_e32 2, v0
	s_cbranch_execz .LBB9_21
; %bb.20:
	ds_load_b128 v[2:5], v1
	ds_load_b128 v[6:9], v1 offset:32
	s_wait_dscnt 0x0
	v_add_f64_e32 v[2:3], v[6:7], v[2:3]
	v_add_f64_e32 v[4:5], v[8:9], v[4:5]
	ds_store_b128 v1, v[2:5]
.LBB9_21:
	s_or_b32 exec_lo, exec_lo, s1
	v_cmp_eq_u32_e32 vcc_lo, 0, v0
	s_wait_dscnt 0x0
	s_barrier_signal -1
	s_barrier_wait -1
	s_and_saveexec_b32 s1, vcc_lo
	s_cbranch_execz .LBB9_23
; %bb.22:
	v_mov_b32_e32 v8, 0
	ds_load_b128 v[0:3], v8
	ds_load_b128 v[4:7], v8 offset:16
	s_wait_dscnt 0x0
	v_add_f64_e32 v[0:1], v[4:5], v[0:1]
	v_add_f64_e32 v[2:3], v[6:7], v[2:3]
	ds_store_b128 v8, v[0:3]
.LBB9_23:
	s_or_b32 exec_lo, exec_lo, s1
	s_wait_dscnt 0x0
	s_barrier_signal -1
	s_barrier_wait -1
	s_and_saveexec_b32 s1, vcc_lo
	s_cbranch_execz .LBB9_25
; %bb.24:
	v_dual_mov_b32 v0, 0 :: v_dual_mov_b32 v4, s0
	ds_load_b128 v[0:3], v0
	s_wait_dscnt 0x0
	global_store_b128 v4, v[0:3], s[10:11] scale_offset
.LBB9_25:
	s_endpgm
	.section	.rodata,"a",@progbits
	.p2align	6, 0x0
	.amdhsa_kernel _ZN9rocsparseL17doti_kernel_part1ILj256ELj2Ei21rocsparse_complex_numIdES2_S2_EEvT1_PKT2_PKS3_PKT3_PT4_21rocsparse_index_base_
		.amdhsa_group_segment_fixed_size 4096
		.amdhsa_private_segment_fixed_size 0
		.amdhsa_kernarg_size 304
		.amdhsa_user_sgpr_count 2
		.amdhsa_user_sgpr_dispatch_ptr 0
		.amdhsa_user_sgpr_queue_ptr 0
		.amdhsa_user_sgpr_kernarg_segment_ptr 1
		.amdhsa_user_sgpr_dispatch_id 0
		.amdhsa_user_sgpr_kernarg_preload_length 0
		.amdhsa_user_sgpr_kernarg_preload_offset 0
		.amdhsa_user_sgpr_private_segment_size 0
		.amdhsa_wavefront_size32 1
		.amdhsa_uses_dynamic_stack 0
		.amdhsa_enable_private_segment 0
		.amdhsa_system_sgpr_workgroup_id_x 1
		.amdhsa_system_sgpr_workgroup_id_y 0
		.amdhsa_system_sgpr_workgroup_id_z 0
		.amdhsa_system_sgpr_workgroup_info 0
		.amdhsa_system_vgpr_workitem_id 0
		.amdhsa_next_free_vgpr 22
		.amdhsa_next_free_sgpr 15
		.amdhsa_named_barrier_count 0
		.amdhsa_reserve_vcc 1
		.amdhsa_float_round_mode_32 0
		.amdhsa_float_round_mode_16_64 0
		.amdhsa_float_denorm_mode_32 3
		.amdhsa_float_denorm_mode_16_64 3
		.amdhsa_fp16_overflow 0
		.amdhsa_memory_ordered 1
		.amdhsa_forward_progress 1
		.amdhsa_inst_pref_size 9
		.amdhsa_round_robin_scheduling 0
		.amdhsa_exception_fp_ieee_invalid_op 0
		.amdhsa_exception_fp_denorm_src 0
		.amdhsa_exception_fp_ieee_div_zero 0
		.amdhsa_exception_fp_ieee_overflow 0
		.amdhsa_exception_fp_ieee_underflow 0
		.amdhsa_exception_fp_ieee_inexact 0
		.amdhsa_exception_int_div_zero 0
	.end_amdhsa_kernel
	.section	.text._ZN9rocsparseL17doti_kernel_part1ILj256ELj2Ei21rocsparse_complex_numIdES2_S2_EEvT1_PKT2_PKS3_PKT3_PT4_21rocsparse_index_base_,"axG",@progbits,_ZN9rocsparseL17doti_kernel_part1ILj256ELj2Ei21rocsparse_complex_numIdES2_S2_EEvT1_PKT2_PKS3_PKT3_PT4_21rocsparse_index_base_,comdat
.Lfunc_end9:
	.size	_ZN9rocsparseL17doti_kernel_part1ILj256ELj2Ei21rocsparse_complex_numIdES2_S2_EEvT1_PKT2_PKS3_PKT3_PT4_21rocsparse_index_base_, .Lfunc_end9-_ZN9rocsparseL17doti_kernel_part1ILj256ELj2Ei21rocsparse_complex_numIdES2_S2_EEvT1_PKT2_PKS3_PKT3_PT4_21rocsparse_index_base_
                                        ; -- End function
	.set _ZN9rocsparseL17doti_kernel_part1ILj256ELj2Ei21rocsparse_complex_numIdES2_S2_EEvT1_PKT2_PKS3_PKT3_PT4_21rocsparse_index_base_.num_vgpr, 22
	.set _ZN9rocsparseL17doti_kernel_part1ILj256ELj2Ei21rocsparse_complex_numIdES2_S2_EEvT1_PKT2_PKS3_PKT3_PT4_21rocsparse_index_base_.num_agpr, 0
	.set _ZN9rocsparseL17doti_kernel_part1ILj256ELj2Ei21rocsparse_complex_numIdES2_S2_EEvT1_PKT2_PKS3_PKT3_PT4_21rocsparse_index_base_.numbered_sgpr, 15
	.set _ZN9rocsparseL17doti_kernel_part1ILj256ELj2Ei21rocsparse_complex_numIdES2_S2_EEvT1_PKT2_PKS3_PKT3_PT4_21rocsparse_index_base_.num_named_barrier, 0
	.set _ZN9rocsparseL17doti_kernel_part1ILj256ELj2Ei21rocsparse_complex_numIdES2_S2_EEvT1_PKT2_PKS3_PKT3_PT4_21rocsparse_index_base_.private_seg_size, 0
	.set _ZN9rocsparseL17doti_kernel_part1ILj256ELj2Ei21rocsparse_complex_numIdES2_S2_EEvT1_PKT2_PKS3_PKT3_PT4_21rocsparse_index_base_.uses_vcc, 1
	.set _ZN9rocsparseL17doti_kernel_part1ILj256ELj2Ei21rocsparse_complex_numIdES2_S2_EEvT1_PKT2_PKS3_PKT3_PT4_21rocsparse_index_base_.uses_flat_scratch, 0
	.set _ZN9rocsparseL17doti_kernel_part1ILj256ELj2Ei21rocsparse_complex_numIdES2_S2_EEvT1_PKT2_PKS3_PKT3_PT4_21rocsparse_index_base_.has_dyn_sized_stack, 0
	.set _ZN9rocsparseL17doti_kernel_part1ILj256ELj2Ei21rocsparse_complex_numIdES2_S2_EEvT1_PKT2_PKS3_PKT3_PT4_21rocsparse_index_base_.has_recursion, 0
	.set _ZN9rocsparseL17doti_kernel_part1ILj256ELj2Ei21rocsparse_complex_numIdES2_S2_EEvT1_PKT2_PKS3_PKT3_PT4_21rocsparse_index_base_.has_indirect_call, 0
	.section	.AMDGPU.csdata,"",@progbits
; Kernel info:
; codeLenInByte = 1104
; TotalNumSgprs: 17
; NumVgprs: 22
; ScratchSize: 0
; MemoryBound: 0
; FloatMode: 240
; IeeeMode: 1
; LDSByteSize: 4096 bytes/workgroup (compile time only)
; SGPRBlocks: 0
; VGPRBlocks: 1
; NumSGPRsForWavesPerEU: 17
; NumVGPRsForWavesPerEU: 22
; NamedBarCnt: 0
; Occupancy: 16
; WaveLimiterHint : 1
; COMPUTE_PGM_RSRC2:SCRATCH_EN: 0
; COMPUTE_PGM_RSRC2:USER_SGPR: 2
; COMPUTE_PGM_RSRC2:TRAP_HANDLER: 0
; COMPUTE_PGM_RSRC2:TGID_X_EN: 1
; COMPUTE_PGM_RSRC2:TGID_Y_EN: 0
; COMPUTE_PGM_RSRC2:TGID_Z_EN: 0
; COMPUTE_PGM_RSRC2:TIDIG_COMP_CNT: 0
	.section	.text._ZN9rocsparseL17doti_kernel_part2ILj256E21rocsparse_complex_numIdEEEvPT0_S4_,"axG",@progbits,_ZN9rocsparseL17doti_kernel_part2ILj256E21rocsparse_complex_numIdEEEvPT0_S4_,comdat
	.globl	_ZN9rocsparseL17doti_kernel_part2ILj256E21rocsparse_complex_numIdEEEvPT0_S4_ ; -- Begin function _ZN9rocsparseL17doti_kernel_part2ILj256E21rocsparse_complex_numIdEEEvPT0_S4_
	.p2align	8
	.type	_ZN9rocsparseL17doti_kernel_part2ILj256E21rocsparse_complex_numIdEEEvPT0_S4_,@function
_ZN9rocsparseL17doti_kernel_part2ILj256E21rocsparse_complex_numIdEEEvPT0_S4_: ; @_ZN9rocsparseL17doti_kernel_part2ILj256E21rocsparse_complex_numIdEEEvPT0_S4_
; %bb.0:
	s_load_b128 s[0:3], s[0:1], 0x0
	v_lshlrev_b32_e32 v1, 4, v0
	s_mov_b32 s4, exec_lo
	s_wait_kmcnt 0x0
	global_load_b128 v[2:5], v0, s[0:1] scale_offset
	s_wait_loadcnt 0x0
	ds_store_2addr_b64 v1, v[2:3], v[4:5] offset1:1
	s_wait_dscnt 0x0
	s_barrier_signal -1
	s_barrier_wait -1
	v_cmpx_gt_u32_e32 0x80, v0
	s_cbranch_execz .LBB10_2
; %bb.1:
	ds_load_b128 v[2:5], v1 offset:2048
	ds_load_b128 v[6:9], v1
	s_wait_dscnt 0x0
	v_add_f64_e32 v[2:3], v[2:3], v[6:7]
	v_add_f64_e32 v[4:5], v[4:5], v[8:9]
	ds_store_b128 v1, v[2:5]
.LBB10_2:
	s_or_b32 exec_lo, exec_lo, s4
	s_delay_alu instid0(SALU_CYCLE_1)
	s_mov_b32 s4, exec_lo
	s_wait_dscnt 0x0
	s_barrier_signal -1
	s_barrier_wait -1
	v_cmpx_gt_u32_e32 64, v0
	s_cbranch_execz .LBB10_4
; %bb.3:
	ds_load_b128 v[2:5], v1 offset:1024
	ds_load_b128 v[6:9], v1
	s_wait_dscnt 0x0
	v_add_f64_e32 v[2:3], v[2:3], v[6:7]
	v_add_f64_e32 v[4:5], v[4:5], v[8:9]
	ds_store_b128 v1, v[2:5]
.LBB10_4:
	s_or_b32 exec_lo, exec_lo, s4
	s_delay_alu instid0(SALU_CYCLE_1)
	s_mov_b32 s4, exec_lo
	;; [unrolled: 16-line block ×6, first 2 shown]
	s_wait_dscnt 0x0
	s_barrier_signal -1
	s_barrier_wait -1
	v_cmpx_gt_u32_e32 2, v0
	s_cbranch_execz .LBB10_14
; %bb.13:
	ds_load_b128 v[2:5], v1
	ds_load_b128 v[6:9], v1 offset:32
	s_wait_dscnt 0x0
	v_add_f64_e32 v[2:3], v[6:7], v[2:3]
	v_add_f64_e32 v[4:5], v[8:9], v[4:5]
	ds_store_b128 v1, v[2:5]
.LBB10_14:
	s_or_b32 exec_lo, exec_lo, s4
	v_cmp_eq_u32_e32 vcc_lo, 0, v0
	s_wait_dscnt 0x0
	s_barrier_signal -1
	s_barrier_wait -1
	s_and_saveexec_b32 s4, vcc_lo
	s_cbranch_execz .LBB10_16
; %bb.15:
	v_mov_b32_e32 v8, 0
	ds_load_b128 v[0:3], v8
	ds_load_b128 v[4:7], v8 offset:16
	s_wait_dscnt 0x0
	v_add_f64_e32 v[0:1], v[4:5], v[0:1]
	v_add_f64_e32 v[2:3], v[6:7], v[2:3]
	ds_store_b128 v8, v[0:3]
.LBB10_16:
	s_or_b32 exec_lo, exec_lo, s4
	s_wait_dscnt 0x0
	s_barrier_signal -1
	s_barrier_wait -1
	s_and_saveexec_b32 s4, vcc_lo
	s_cbranch_execz .LBB10_18
; %bb.17:
	v_mov_b32_e32 v4, 0
	s_cmp_eq_u64 s[2:3], 0
	s_cselect_b32 s1, s1, s3
	s_cselect_b32 s0, s0, s2
	ds_load_b128 v[0:3], v4
	s_wait_dscnt 0x0
	global_store_b128 v4, v[0:3], s[0:1]
.LBB10_18:
	s_endpgm
	.section	.rodata,"a",@progbits
	.p2align	6, 0x0
	.amdhsa_kernel _ZN9rocsparseL17doti_kernel_part2ILj256E21rocsparse_complex_numIdEEEvPT0_S4_
		.amdhsa_group_segment_fixed_size 4096
		.amdhsa_private_segment_fixed_size 0
		.amdhsa_kernarg_size 16
		.amdhsa_user_sgpr_count 2
		.amdhsa_user_sgpr_dispatch_ptr 0
		.amdhsa_user_sgpr_queue_ptr 0
		.amdhsa_user_sgpr_kernarg_segment_ptr 1
		.amdhsa_user_sgpr_dispatch_id 0
		.amdhsa_user_sgpr_kernarg_preload_length 0
		.amdhsa_user_sgpr_kernarg_preload_offset 0
		.amdhsa_user_sgpr_private_segment_size 0
		.amdhsa_wavefront_size32 1
		.amdhsa_uses_dynamic_stack 0
		.amdhsa_enable_private_segment 0
		.amdhsa_system_sgpr_workgroup_id_x 1
		.amdhsa_system_sgpr_workgroup_id_y 0
		.amdhsa_system_sgpr_workgroup_id_z 0
		.amdhsa_system_sgpr_workgroup_info 0
		.amdhsa_system_vgpr_workitem_id 0
		.amdhsa_next_free_vgpr 10
		.amdhsa_next_free_sgpr 5
		.amdhsa_named_barrier_count 0
		.amdhsa_reserve_vcc 1
		.amdhsa_float_round_mode_32 0
		.amdhsa_float_round_mode_16_64 0
		.amdhsa_float_denorm_mode_32 3
		.amdhsa_float_denorm_mode_16_64 3
		.amdhsa_fp16_overflow 0
		.amdhsa_memory_ordered 1
		.amdhsa_forward_progress 1
		.amdhsa_inst_pref_size 6
		.amdhsa_round_robin_scheduling 0
		.amdhsa_exception_fp_ieee_invalid_op 0
		.amdhsa_exception_fp_denorm_src 0
		.amdhsa_exception_fp_ieee_div_zero 0
		.amdhsa_exception_fp_ieee_overflow 0
		.amdhsa_exception_fp_ieee_underflow 0
		.amdhsa_exception_fp_ieee_inexact 0
		.amdhsa_exception_int_div_zero 0
	.end_amdhsa_kernel
	.section	.text._ZN9rocsparseL17doti_kernel_part2ILj256E21rocsparse_complex_numIdEEEvPT0_S4_,"axG",@progbits,_ZN9rocsparseL17doti_kernel_part2ILj256E21rocsparse_complex_numIdEEEvPT0_S4_,comdat
.Lfunc_end10:
	.size	_ZN9rocsparseL17doti_kernel_part2ILj256E21rocsparse_complex_numIdEEEvPT0_S4_, .Lfunc_end10-_ZN9rocsparseL17doti_kernel_part2ILj256E21rocsparse_complex_numIdEEEvPT0_S4_
                                        ; -- End function
	.set _ZN9rocsparseL17doti_kernel_part2ILj256E21rocsparse_complex_numIdEEEvPT0_S4_.num_vgpr, 10
	.set _ZN9rocsparseL17doti_kernel_part2ILj256E21rocsparse_complex_numIdEEEvPT0_S4_.num_agpr, 0
	.set _ZN9rocsparseL17doti_kernel_part2ILj256E21rocsparse_complex_numIdEEEvPT0_S4_.numbered_sgpr, 5
	.set _ZN9rocsparseL17doti_kernel_part2ILj256E21rocsparse_complex_numIdEEEvPT0_S4_.num_named_barrier, 0
	.set _ZN9rocsparseL17doti_kernel_part2ILj256E21rocsparse_complex_numIdEEEvPT0_S4_.private_seg_size, 0
	.set _ZN9rocsparseL17doti_kernel_part2ILj256E21rocsparse_complex_numIdEEEvPT0_S4_.uses_vcc, 1
	.set _ZN9rocsparseL17doti_kernel_part2ILj256E21rocsparse_complex_numIdEEEvPT0_S4_.uses_flat_scratch, 0
	.set _ZN9rocsparseL17doti_kernel_part2ILj256E21rocsparse_complex_numIdEEEvPT0_S4_.has_dyn_sized_stack, 0
	.set _ZN9rocsparseL17doti_kernel_part2ILj256E21rocsparse_complex_numIdEEEvPT0_S4_.has_recursion, 0
	.set _ZN9rocsparseL17doti_kernel_part2ILj256E21rocsparse_complex_numIdEEEvPT0_S4_.has_indirect_call, 0
	.section	.AMDGPU.csdata,"",@progbits
; Kernel info:
; codeLenInByte = 648
; TotalNumSgprs: 7
; NumVgprs: 10
; ScratchSize: 0
; MemoryBound: 0
; FloatMode: 240
; IeeeMode: 1
; LDSByteSize: 4096 bytes/workgroup (compile time only)
; SGPRBlocks: 0
; VGPRBlocks: 0
; NumSGPRsForWavesPerEU: 7
; NumVGPRsForWavesPerEU: 10
; NamedBarCnt: 0
; Occupancy: 16
; WaveLimiterHint : 0
; COMPUTE_PGM_RSRC2:SCRATCH_EN: 0
; COMPUTE_PGM_RSRC2:USER_SGPR: 2
; COMPUTE_PGM_RSRC2:TRAP_HANDLER: 0
; COMPUTE_PGM_RSRC2:TGID_X_EN: 1
; COMPUTE_PGM_RSRC2:TGID_Y_EN: 0
; COMPUTE_PGM_RSRC2:TGID_Z_EN: 0
; COMPUTE_PGM_RSRC2:TIDIG_COMP_CNT: 0
	.section	.text._ZN9rocsparseL17doti_kernel_part1ILj256ELj2El21rocsparse_complex_numIdES2_S2_EEvT1_PKT2_PKS3_PKT3_PT4_21rocsparse_index_base_,"axG",@progbits,_ZN9rocsparseL17doti_kernel_part1ILj256ELj2El21rocsparse_complex_numIdES2_S2_EEvT1_PKT2_PKS3_PKT3_PT4_21rocsparse_index_base_,comdat
	.globl	_ZN9rocsparseL17doti_kernel_part1ILj256ELj2El21rocsparse_complex_numIdES2_S2_EEvT1_PKT2_PKS3_PKT3_PT4_21rocsparse_index_base_ ; -- Begin function _ZN9rocsparseL17doti_kernel_part1ILj256ELj2El21rocsparse_complex_numIdES2_S2_EEvT1_PKT2_PKS3_PKT3_PT4_21rocsparse_index_base_
	.p2align	8
	.type	_ZN9rocsparseL17doti_kernel_part1ILj256ELj2El21rocsparse_complex_numIdES2_S2_EEvT1_PKT2_PKS3_PKT3_PT4_21rocsparse_index_base_,@function
_ZN9rocsparseL17doti_kernel_part1ILj256ELj2El21rocsparse_complex_numIdES2_S2_EEvT1_PKT2_PKS3_PKT3_PT4_21rocsparse_index_base_: ; @_ZN9rocsparseL17doti_kernel_part1ILj256ELj2El21rocsparse_complex_numIdES2_S2_EEvT1_PKT2_PKS3_PKT3_PT4_21rocsparse_index_base_
; %bb.0:
	s_clause 0x2
	s_load_b32 s21, s[0:1], 0x30
	s_load_b256 s[4:11], s[0:1], 0x0
	s_load_b96 s[12:14], s[0:1], 0x20
	s_wait_xcnt 0x0
	s_bfe_u32 s0, ttmp6, 0x4000c
	s_and_b32 s1, ttmp6, 15
	s_add_co_i32 s0, s0, 1
	s_getreg_b32 s2, hwreg(HW_REG_IB_STS2, 6, 4)
	s_mul_i32 s0, ttmp9, s0
	s_mov_b32 s3, 0
	s_add_co_i32 s1, s1, s0
	s_cmp_eq_u32 s2, 0
	v_mov_b64_e32 v[2:3], 0
	s_cselect_b32 s20, ttmp9, s1
	v_mov_b32_e32 v7, 0
	s_lshl_b32 s1, s20, 8
	s_delay_alu instid0(SALU_CYCLE_1) | instskip(SKIP_2) | instid1(SALU_CYCLE_1)
	v_or_b32_e32 v6, s1, v0
	s_wait_kmcnt 0x0
	s_lshl_b32 s2, s21, 9
	v_cmp_le_i64_e64 s0, s[4:5], s[2:3]
	s_and_b32 vcc_lo, exec_lo, s0
	s_mov_b32 s0, s14
	s_cbranch_vccnz .LBB11_3
; %bb.1:
	v_dual_mov_b32 v5, v7 :: v_dual_add_nc_u32 v4, s1, v6
	v_mov_b64_e32 v[2:3], 0
	s_mov_b32 s1, s3
	s_lshl_b64 s[16:17], s[2:3], 4
	s_lshl_b64 s[18:19], s[2:3], 3
	v_lshl_add_u64 v[8:9], v[4:5], 4, s[6:7]
	v_lshl_add_u64 v[4:5], v[4:5], 3, s[8:9]
	s_mov_b64 s[14:15], s[2:3]
	s_delay_alu instid0(VALU_DEP_2) | instskip(NEXT) | instid1(VALU_DEP_2)
	v_add_nc_u64_e32 v[8:9], 0x1000, v[8:9]
	v_add_nc_u64_e32 v[10:11], 0x800, v[4:5]
	v_mov_b64_e32 v[4:5], v[2:3]
.LBB11_2:                               ; =>This Inner Loop Header: Depth=1
	s_clause 0x1
	global_load_b64 v[12:13], v[10:11], off offset:-2048
	global_load_b64 v[20:21], v[10:11], off
	s_add_nc_u64 s[14:15], s[14:15], s[2:3]
	s_wait_xcnt 0x0
	v_add_nc_u64_e32 v[10:11], s[18:19], v[10:11]
	v_cmp_lt_i64_e64 s22, s[14:15], s[4:5]
	s_and_b32 vcc_lo, exec_lo, s22
	s_wait_loadcnt 0x1
	v_sub_nc_u64_e64 v[12:13], v[12:13], s[0:1]
	s_wait_loadcnt 0x0
	v_sub_nc_u64_e64 v[20:21], v[20:21], s[0:1]
	s_delay_alu instid0(VALU_DEP_2) | instskip(NEXT) | instid1(VALU_DEP_2)
	v_lshl_add_u64 v[22:23], v[12:13], 4, s[10:11]
	v_lshl_add_u64 v[28:29], v[20:21], 4, s[10:11]
	global_load_b128 v[12:15], v[8:9], off offset:-4096
	global_load_b128 v[16:19], v[22:23], off
	global_load_b128 v[20:23], v[8:9], off
	;; [unrolled: 1-line block ×3, first 2 shown]
	s_wait_xcnt 0x1
	v_add_nc_u64_e32 v[8:9], s[16:17], v[8:9]
	s_wait_loadcnt 0x2
	v_fmac_f64_e32 v[2:3], v[16:17], v[12:13]
	v_fmac_f64_e32 v[4:5], v[18:19], v[12:13]
	s_delay_alu instid0(VALU_DEP_2) | instskip(NEXT) | instid1(VALU_DEP_2)
	v_fma_f64 v[2:3], -v[18:19], v[14:15], v[2:3]
	v_fmac_f64_e32 v[4:5], v[16:17], v[14:15]
	s_wait_loadcnt 0x0
	s_delay_alu instid0(VALU_DEP_2) | instskip(NEXT) | instid1(VALU_DEP_2)
	v_fmac_f64_e32 v[2:3], v[24:25], v[20:21]
	v_fmac_f64_e32 v[4:5], v[26:27], v[20:21]
	s_delay_alu instid0(VALU_DEP_2) | instskip(NEXT) | instid1(VALU_DEP_2)
	v_fma_f64 v[2:3], -v[26:27], v[22:23], v[2:3]
	v_fmac_f64_e32 v[4:5], v[24:25], v[22:23]
	s_cbranch_vccnz .LBB11_2
	s_branch .LBB11_4
.LBB11_3:
	v_mov_b64_e32 v[4:5], 0
	s_mov_b64 s[14:15], s[2:3]
.LBB11_4:
	v_sub_nc_u64_e64 v[6:7], v[6:7], s[2:3]
	s_delay_alu instid0(VALU_DEP_1) | instskip(SKIP_1) | instid1(VALU_DEP_1)
	v_add_nc_u64_e32 v[6:7], s[14:15], v[6:7]
	s_mov_b32 s14, exec_lo
	v_cmpx_gt_i64_e64 s[4:5], v[6:7]
	s_cbranch_execz .LBB11_8
; %bb.5:
	v_lshl_add_u64 v[8:9], v[6:7], 4, s[6:7]
	s_mov_b32 s1, 0
	v_lshl_add_u64 v[10:11], v[6:7], 3, s[8:9]
	s_lshl_b32 s2, s21, 8
	s_mov_b32 s3, s1
	v_add_nc_u64_e32 v[8:9], 8, v[8:9]
	s_lshl_b64 s[6:7], s[2:3], 4
	s_lshl_b64 s[8:9], s[2:3], 3
	s_mov_b32 s15, s1
.LBB11_6:                               ; =>This Inner Loop Header: Depth=1
	global_load_b64 v[12:13], v[10:11], off
	v_add_nc_u64_e32 v[6:7], s[2:3], v[6:7]
	s_wait_xcnt 0x0
	v_add_nc_u64_e32 v[10:11], s[8:9], v[10:11]
	s_delay_alu instid0(VALU_DEP_2) | instskip(SKIP_3) | instid1(VALU_DEP_1)
	v_cmp_le_i64_e32 vcc_lo, s[4:5], v[6:7]
	s_or_b32 s15, vcc_lo, s15
	s_wait_loadcnt 0x0
	v_sub_nc_u64_e64 v[12:13], v[12:13], s[0:1]
	v_lshl_add_u64 v[20:21], v[12:13], 4, s[10:11]
	global_load_b128 v[12:15], v[8:9], off offset:-8
	global_load_b128 v[16:19], v[20:21], off
	s_wait_xcnt 0x1
	v_add_nc_u64_e32 v[8:9], s[6:7], v[8:9]
	s_wait_loadcnt 0x0
	v_fmac_f64_e32 v[2:3], v[16:17], v[12:13]
	v_fmac_f64_e32 v[4:5], v[18:19], v[12:13]
	s_delay_alu instid0(VALU_DEP_2) | instskip(NEXT) | instid1(VALU_DEP_2)
	v_fma_f64 v[2:3], -v[18:19], v[14:15], v[2:3]
	v_fmac_f64_e32 v[4:5], v[16:17], v[14:15]
	s_and_not1_b32 exec_lo, exec_lo, s15
	s_cbranch_execnz .LBB11_6
; %bb.7:
	s_or_b32 exec_lo, exec_lo, s15
.LBB11_8:
	s_delay_alu instid0(SALU_CYCLE_1)
	s_or_b32 exec_lo, exec_lo, s14
	v_lshlrev_b32_e32 v1, 4, v0
	s_mov_b32 s0, exec_lo
	ds_store_b128 v1, v[2:5]
	s_wait_dscnt 0x0
	s_barrier_signal -1
	s_barrier_wait -1
	v_cmpx_gt_u32_e32 0x80, v0
	s_cbranch_execz .LBB11_10
; %bb.9:
	ds_load_b128 v[2:5], v1 offset:2048
	ds_load_b128 v[6:9], v1
	s_wait_dscnt 0x0
	v_add_f64_e32 v[2:3], v[2:3], v[6:7]
	v_add_f64_e32 v[4:5], v[4:5], v[8:9]
	ds_store_b128 v1, v[2:5]
.LBB11_10:
	s_or_b32 exec_lo, exec_lo, s0
	s_delay_alu instid0(SALU_CYCLE_1)
	s_mov_b32 s0, exec_lo
	s_wait_dscnt 0x0
	s_barrier_signal -1
	s_barrier_wait -1
	v_cmpx_gt_u32_e32 64, v0
	s_cbranch_execz .LBB11_12
; %bb.11:
	ds_load_b128 v[2:5], v1 offset:1024
	ds_load_b128 v[6:9], v1
	s_wait_dscnt 0x0
	v_add_f64_e32 v[2:3], v[2:3], v[6:7]
	v_add_f64_e32 v[4:5], v[4:5], v[8:9]
	ds_store_b128 v1, v[2:5]
.LBB11_12:
	s_or_b32 exec_lo, exec_lo, s0
	s_delay_alu instid0(SALU_CYCLE_1)
	s_mov_b32 s0, exec_lo
	;; [unrolled: 16-line block ×6, first 2 shown]
	s_wait_dscnt 0x0
	s_barrier_signal -1
	s_barrier_wait -1
	v_cmpx_gt_u32_e32 2, v0
	s_cbranch_execz .LBB11_22
; %bb.21:
	ds_load_b128 v[2:5], v1
	ds_load_b128 v[6:9], v1 offset:32
	s_wait_dscnt 0x0
	v_add_f64_e32 v[2:3], v[6:7], v[2:3]
	v_add_f64_e32 v[4:5], v[8:9], v[4:5]
	ds_store_b128 v1, v[2:5]
.LBB11_22:
	s_or_b32 exec_lo, exec_lo, s0
	v_cmp_eq_u32_e32 vcc_lo, 0, v0
	s_wait_dscnt 0x0
	s_barrier_signal -1
	s_barrier_wait -1
	s_and_saveexec_b32 s0, vcc_lo
	s_cbranch_execz .LBB11_24
; %bb.23:
	v_mov_b32_e32 v8, 0
	ds_load_b128 v[0:3], v8
	ds_load_b128 v[4:7], v8 offset:16
	s_wait_dscnt 0x0
	v_add_f64_e32 v[0:1], v[4:5], v[0:1]
	v_add_f64_e32 v[2:3], v[6:7], v[2:3]
	ds_store_b128 v8, v[0:3]
.LBB11_24:
	s_or_b32 exec_lo, exec_lo, s0
	s_wait_dscnt 0x0
	s_barrier_signal -1
	s_barrier_wait -1
	s_and_saveexec_b32 s0, vcc_lo
	s_cbranch_execz .LBB11_26
; %bb.25:
	v_dual_mov_b32 v0, 0 :: v_dual_mov_b32 v4, s20
	ds_load_b128 v[0:3], v0
	s_wait_dscnt 0x0
	global_store_b128 v4, v[0:3], s[12:13] scale_offset
.LBB11_26:
	s_endpgm
	.section	.rodata,"a",@progbits
	.p2align	6, 0x0
	.amdhsa_kernel _ZN9rocsparseL17doti_kernel_part1ILj256ELj2El21rocsparse_complex_numIdES2_S2_EEvT1_PKT2_PKS3_PKT3_PT4_21rocsparse_index_base_
		.amdhsa_group_segment_fixed_size 4096
		.amdhsa_private_segment_fixed_size 0
		.amdhsa_kernarg_size 304
		.amdhsa_user_sgpr_count 2
		.amdhsa_user_sgpr_dispatch_ptr 0
		.amdhsa_user_sgpr_queue_ptr 0
		.amdhsa_user_sgpr_kernarg_segment_ptr 1
		.amdhsa_user_sgpr_dispatch_id 0
		.amdhsa_user_sgpr_kernarg_preload_length 0
		.amdhsa_user_sgpr_kernarg_preload_offset 0
		.amdhsa_user_sgpr_private_segment_size 0
		.amdhsa_wavefront_size32 1
		.amdhsa_uses_dynamic_stack 0
		.amdhsa_enable_private_segment 0
		.amdhsa_system_sgpr_workgroup_id_x 1
		.amdhsa_system_sgpr_workgroup_id_y 0
		.amdhsa_system_sgpr_workgroup_id_z 0
		.amdhsa_system_sgpr_workgroup_info 0
		.amdhsa_system_vgpr_workitem_id 0
		.amdhsa_next_free_vgpr 30
		.amdhsa_next_free_sgpr 23
		.amdhsa_named_barrier_count 0
		.amdhsa_reserve_vcc 1
		.amdhsa_float_round_mode_32 0
		.amdhsa_float_round_mode_16_64 0
		.amdhsa_float_denorm_mode_32 3
		.amdhsa_float_denorm_mode_16_64 3
		.amdhsa_fp16_overflow 0
		.amdhsa_memory_ordered 1
		.amdhsa_forward_progress 1
		.amdhsa_inst_pref_size 10
		.amdhsa_round_robin_scheduling 0
		.amdhsa_exception_fp_ieee_invalid_op 0
		.amdhsa_exception_fp_denorm_src 0
		.amdhsa_exception_fp_ieee_div_zero 0
		.amdhsa_exception_fp_ieee_overflow 0
		.amdhsa_exception_fp_ieee_underflow 0
		.amdhsa_exception_fp_ieee_inexact 0
		.amdhsa_exception_int_div_zero 0
	.end_amdhsa_kernel
	.section	.text._ZN9rocsparseL17doti_kernel_part1ILj256ELj2El21rocsparse_complex_numIdES2_S2_EEvT1_PKT2_PKS3_PKT3_PT4_21rocsparse_index_base_,"axG",@progbits,_ZN9rocsparseL17doti_kernel_part1ILj256ELj2El21rocsparse_complex_numIdES2_S2_EEvT1_PKT2_PKS3_PKT3_PT4_21rocsparse_index_base_,comdat
.Lfunc_end11:
	.size	_ZN9rocsparseL17doti_kernel_part1ILj256ELj2El21rocsparse_complex_numIdES2_S2_EEvT1_PKT2_PKS3_PKT3_PT4_21rocsparse_index_base_, .Lfunc_end11-_ZN9rocsparseL17doti_kernel_part1ILj256ELj2El21rocsparse_complex_numIdES2_S2_EEvT1_PKT2_PKS3_PKT3_PT4_21rocsparse_index_base_
                                        ; -- End function
	.set _ZN9rocsparseL17doti_kernel_part1ILj256ELj2El21rocsparse_complex_numIdES2_S2_EEvT1_PKT2_PKS3_PKT3_PT4_21rocsparse_index_base_.num_vgpr, 30
	.set _ZN9rocsparseL17doti_kernel_part1ILj256ELj2El21rocsparse_complex_numIdES2_S2_EEvT1_PKT2_PKS3_PKT3_PT4_21rocsparse_index_base_.num_agpr, 0
	.set _ZN9rocsparseL17doti_kernel_part1ILj256ELj2El21rocsparse_complex_numIdES2_S2_EEvT1_PKT2_PKS3_PKT3_PT4_21rocsparse_index_base_.numbered_sgpr, 23
	.set _ZN9rocsparseL17doti_kernel_part1ILj256ELj2El21rocsparse_complex_numIdES2_S2_EEvT1_PKT2_PKS3_PKT3_PT4_21rocsparse_index_base_.num_named_barrier, 0
	.set _ZN9rocsparseL17doti_kernel_part1ILj256ELj2El21rocsparse_complex_numIdES2_S2_EEvT1_PKT2_PKS3_PKT3_PT4_21rocsparse_index_base_.private_seg_size, 0
	.set _ZN9rocsparseL17doti_kernel_part1ILj256ELj2El21rocsparse_complex_numIdES2_S2_EEvT1_PKT2_PKS3_PKT3_PT4_21rocsparse_index_base_.uses_vcc, 1
	.set _ZN9rocsparseL17doti_kernel_part1ILj256ELj2El21rocsparse_complex_numIdES2_S2_EEvT1_PKT2_PKS3_PKT3_PT4_21rocsparse_index_base_.uses_flat_scratch, 0
	.set _ZN9rocsparseL17doti_kernel_part1ILj256ELj2El21rocsparse_complex_numIdES2_S2_EEvT1_PKT2_PKS3_PKT3_PT4_21rocsparse_index_base_.has_dyn_sized_stack, 0
	.set _ZN9rocsparseL17doti_kernel_part1ILj256ELj2El21rocsparse_complex_numIdES2_S2_EEvT1_PKT2_PKS3_PKT3_PT4_21rocsparse_index_base_.has_recursion, 0
	.set _ZN9rocsparseL17doti_kernel_part1ILj256ELj2El21rocsparse_complex_numIdES2_S2_EEvT1_PKT2_PKS3_PKT3_PT4_21rocsparse_index_base_.has_indirect_call, 0
	.section	.AMDGPU.csdata,"",@progbits
; Kernel info:
; codeLenInByte = 1244
; TotalNumSgprs: 25
; NumVgprs: 30
; ScratchSize: 0
; MemoryBound: 0
; FloatMode: 240
; IeeeMode: 1
; LDSByteSize: 4096 bytes/workgroup (compile time only)
; SGPRBlocks: 0
; VGPRBlocks: 1
; NumSGPRsForWavesPerEU: 25
; NumVGPRsForWavesPerEU: 30
; NamedBarCnt: 0
; Occupancy: 16
; WaveLimiterHint : 1
; COMPUTE_PGM_RSRC2:SCRATCH_EN: 0
; COMPUTE_PGM_RSRC2:USER_SGPR: 2
; COMPUTE_PGM_RSRC2:TRAP_HANDLER: 0
; COMPUTE_PGM_RSRC2:TGID_X_EN: 1
; COMPUTE_PGM_RSRC2:TGID_Y_EN: 0
; COMPUTE_PGM_RSRC2:TGID_Z_EN: 0
; COMPUTE_PGM_RSRC2:TIDIG_COMP_CNT: 0
	.section	.text._ZN9rocsparseL17doti_kernel_part1ILj256ELj2EiaaiEEvT1_PKT2_PKS1_PKT3_PT4_21rocsparse_index_base_,"axG",@progbits,_ZN9rocsparseL17doti_kernel_part1ILj256ELj2EiaaiEEvT1_PKT2_PKS1_PKT3_PT4_21rocsparse_index_base_,comdat
	.globl	_ZN9rocsparseL17doti_kernel_part1ILj256ELj2EiaaiEEvT1_PKT2_PKS1_PKT3_PT4_21rocsparse_index_base_ ; -- Begin function _ZN9rocsparseL17doti_kernel_part1ILj256ELj2EiaaiEEvT1_PKT2_PKS1_PKT3_PT4_21rocsparse_index_base_
	.p2align	8
	.type	_ZN9rocsparseL17doti_kernel_part1ILj256ELj2EiaaiEEvT1_PKT2_PKS1_PKT3_PT4_21rocsparse_index_base_,@function
_ZN9rocsparseL17doti_kernel_part1ILj256ELj2EiaaiEEvT1_PKT2_PKS1_PKT3_PT4_21rocsparse_index_base_: ; @_ZN9rocsparseL17doti_kernel_part1ILj256ELj2EiaaiEEvT1_PKT2_PKS1_PKT3_PT4_21rocsparse_index_base_
; %bb.0:
	s_clause 0x3
	s_load_b32 s12, s[0:1], 0x30
	s_load_b32 s2, s[0:1], 0x0
	;; [unrolled: 1-line block ×3, first 2 shown]
	s_load_b256 s[4:11], s[0:1], 0x8
	s_wait_xcnt 0x0
	s_bfe_u32 s0, ttmp6, 0x4000c
	s_and_b32 s1, ttmp6, 15
	s_add_co_i32 s0, s0, 1
	s_getreg_b32 s13, hwreg(HW_REG_IB_STS2, 6, 4)
	s_mul_i32 s0, ttmp9, s0
	v_mov_b32_e32 v2, 0
	s_add_co_i32 s1, s1, s0
	s_cmp_eq_u32 s13, 0
	s_mov_b32 s13, 0
	s_cselect_b32 s0, ttmp9, s1
	s_wait_kmcnt 0x0
	s_lshl_b32 s1, s12, 9
	s_delay_alu instid0(SALU_CYCLE_1)
	s_cmp_ge_i32 s1, s2
	s_mov_b32 s14, s1
	s_cbranch_scc1 .LBB12_3
; %bb.1:
	v_lshl_or_b32 v1, s0, 9, v0
	v_mov_b32_e32 v2, 0
.LBB12_2:                               ; =>This Inner Loop Header: Depth=1
	s_delay_alu instid0(VALU_DEP_2) | instskip(SKIP_1) | instid1(SALU_CYCLE_1)
	v_add_nc_u32_e32 v3, s13, v1
	s_add_co_i32 s13, s13, s1
	s_add_co_i32 s14, s1, s13
	s_delay_alu instid0(SALU_CYCLE_1) | instskip(NEXT) | instid1(VALU_DEP_1)
	s_cmp_lt_i32 s14, s2
	v_add_nc_u32_e32 v4, 0x100, v3
	s_clause 0x1
	global_load_b32 v5, v3, s[6:7] scale_offset
	global_load_b32 v6, v4, s[6:7] scale_offset
	s_clause 0x1
	global_load_i8 v7, v3, s[4:5]
	global_load_i8 v8, v4, s[4:5]
	s_wait_loadcnt 0x3
	s_wait_xcnt 0x1
	v_subrev_nc_u32_e32 v3, s3, v5
	s_wait_loadcnt 0x2
	s_wait_xcnt 0x0
	v_subrev_nc_u32_e32 v4, s3, v6
	s_clause 0x1
	global_load_i8 v5, v3, s[8:9]
	global_load_i8 v6, v4, s[8:9]
	s_wait_loadcnt 0x2
	s_wait_xcnt 0x1
	v_perm_b32 v3, v8, v7, 0xc0c0400
	s_wait_loadcnt 0x0
	v_perm_b32 v4, v6, v5, 0xc0c0400
	s_delay_alu instid0(VALU_DEP_1)
	v_dot4_i32_iu8 v2, v3, v4, v2 neg_lo:[1,1,0]
	s_cbranch_scc1 .LBB12_2
.LBB12_3:
	v_lshl_or_b32 v1, s0, 8, v0
	s_delay_alu instid0(VALU_DEP_1) | instskip(SKIP_1) | instid1(VALU_DEP_1)
	v_subrev_nc_u32_e32 v1, s1, v1
	s_mov_b32 s1, exec_lo
	v_add_nc_u32_e32 v1, s14, v1
	s_delay_alu instid0(VALU_DEP_1)
	v_cmpx_gt_i32_e64 s2, v1
	s_cbranch_execz .LBB12_7
; %bb.4:
	s_lshl_b32 s13, s12, 8
	s_mov_b32 s12, 0
.LBB12_5:                               ; =>This Inner Loop Header: Depth=1
	s_clause 0x1
	global_load_b32 v3, v1, s[6:7] scale_offset
	global_load_i8 v4, v1, s[4:5]
	s_wait_xcnt 0x0
	v_add_nc_u32_e32 v1, s13, v1
	s_delay_alu instid0(VALU_DEP_1)
	v_cmp_le_i32_e32 vcc_lo, s2, v1
	s_or_b32 s12, vcc_lo, s12
	s_wait_loadcnt 0x1
	v_subrev_nc_u32_e32 v3, s3, v3
	global_load_i8 v3, v3, s[8:9]
	s_wait_loadcnt 0x0
	v_mad_i32_i24 v2, v4, v3, v2
	s_and_not1_b32 exec_lo, exec_lo, s12
	s_cbranch_execnz .LBB12_5
; %bb.6:
	s_or_b32 exec_lo, exec_lo, s12
.LBB12_7:
	s_delay_alu instid0(SALU_CYCLE_1)
	s_or_b32 exec_lo, exec_lo, s1
	v_lshlrev_b32_e32 v1, 2, v0
	s_mov_b32 s1, exec_lo
	ds_store_b32 v1, v2
	s_wait_dscnt 0x0
	s_barrier_signal -1
	s_barrier_wait -1
	v_cmpx_gt_u32_e32 0x80, v0
	s_cbranch_execz .LBB12_9
; %bb.8:
	ds_load_2addr_stride64_b32 v[2:3], v1 offset1:2
	s_wait_dscnt 0x0
	v_add_nc_u32_e32 v2, v3, v2
	ds_store_b32 v1, v2
.LBB12_9:
	s_or_b32 exec_lo, exec_lo, s1
	s_delay_alu instid0(SALU_CYCLE_1)
	s_mov_b32 s1, exec_lo
	s_wait_dscnt 0x0
	s_barrier_signal -1
	s_barrier_wait -1
	v_cmpx_gt_u32_e32 64, v0
	s_cbranch_execz .LBB12_11
; %bb.10:
	ds_load_2addr_stride64_b32 v[2:3], v1 offset1:1
	s_wait_dscnt 0x0
	v_add_nc_u32_e32 v2, v3, v2
	ds_store_b32 v1, v2
.LBB12_11:
	s_or_b32 exec_lo, exec_lo, s1
	s_delay_alu instid0(SALU_CYCLE_1)
	s_mov_b32 s1, exec_lo
	s_wait_dscnt 0x0
	s_barrier_signal -1
	s_barrier_wait -1
	v_cmpx_gt_u32_e32 32, v0
	s_cbranch_execz .LBB12_13
; %bb.12:
	ds_load_2addr_b32 v[2:3], v1 offset1:32
	s_wait_dscnt 0x0
	v_add_nc_u32_e32 v2, v3, v2
	ds_store_b32 v1, v2
.LBB12_13:
	s_or_b32 exec_lo, exec_lo, s1
	s_delay_alu instid0(SALU_CYCLE_1)
	s_mov_b32 s1, exec_lo
	s_wait_dscnt 0x0
	s_barrier_signal -1
	s_barrier_wait -1
	v_cmpx_gt_u32_e32 16, v0
	s_cbranch_execz .LBB12_15
; %bb.14:
	ds_load_2addr_b32 v[2:3], v1 offset1:16
	s_wait_dscnt 0x0
	v_add_nc_u32_e32 v2, v3, v2
	ds_store_b32 v1, v2
.LBB12_15:
	;; [unrolled: 14-line block ×5, first 2 shown]
	s_or_b32 exec_lo, exec_lo, s1
	v_cmp_eq_u32_e32 vcc_lo, 0, v0
	s_wait_dscnt 0x0
	s_barrier_signal -1
	s_barrier_wait -1
	s_and_saveexec_b32 s1, vcc_lo
	s_cbranch_execz .LBB12_23
; %bb.22:
	v_mov_b32_e32 v2, 0
	ds_load_b64 v[0:1], v2
	s_wait_dscnt 0x0
	v_add_nc_u32_e32 v0, v1, v0
	ds_store_b32 v2, v0
.LBB12_23:
	s_or_b32 exec_lo, exec_lo, s1
	s_wait_dscnt 0x0
	s_barrier_signal -1
	s_barrier_wait -1
	s_and_saveexec_b32 s1, vcc_lo
	s_cbranch_execz .LBB12_25
; %bb.24:
	v_dual_mov_b32 v0, 0 :: v_dual_mov_b32 v1, s0
	ds_load_b32 v0, v0
	s_wait_dscnt 0x0
	global_store_b32 v1, v0, s[10:11] scale_offset
.LBB12_25:
	s_endpgm
	.section	.rodata,"a",@progbits
	.p2align	6, 0x0
	.amdhsa_kernel _ZN9rocsparseL17doti_kernel_part1ILj256ELj2EiaaiEEvT1_PKT2_PKS1_PKT3_PT4_21rocsparse_index_base_
		.amdhsa_group_segment_fixed_size 1024
		.amdhsa_private_segment_fixed_size 0
		.amdhsa_kernarg_size 304
		.amdhsa_user_sgpr_count 2
		.amdhsa_user_sgpr_dispatch_ptr 0
		.amdhsa_user_sgpr_queue_ptr 0
		.amdhsa_user_sgpr_kernarg_segment_ptr 1
		.amdhsa_user_sgpr_dispatch_id 0
		.amdhsa_user_sgpr_kernarg_preload_length 0
		.amdhsa_user_sgpr_kernarg_preload_offset 0
		.amdhsa_user_sgpr_private_segment_size 0
		.amdhsa_wavefront_size32 1
		.amdhsa_uses_dynamic_stack 0
		.amdhsa_enable_private_segment 0
		.amdhsa_system_sgpr_workgroup_id_x 1
		.amdhsa_system_sgpr_workgroup_id_y 0
		.amdhsa_system_sgpr_workgroup_id_z 0
		.amdhsa_system_sgpr_workgroup_info 0
		.amdhsa_system_vgpr_workitem_id 0
		.amdhsa_next_free_vgpr 9
		.amdhsa_next_free_sgpr 15
		.amdhsa_named_barrier_count 0
		.amdhsa_reserve_vcc 1
		.amdhsa_float_round_mode_32 0
		.amdhsa_float_round_mode_16_64 0
		.amdhsa_float_denorm_mode_32 3
		.amdhsa_float_denorm_mode_16_64 3
		.amdhsa_fp16_overflow 0
		.amdhsa_memory_ordered 1
		.amdhsa_forward_progress 1
		.amdhsa_inst_pref_size 8
		.amdhsa_round_robin_scheduling 0
		.amdhsa_exception_fp_ieee_invalid_op 0
		.amdhsa_exception_fp_denorm_src 0
		.amdhsa_exception_fp_ieee_div_zero 0
		.amdhsa_exception_fp_ieee_overflow 0
		.amdhsa_exception_fp_ieee_underflow 0
		.amdhsa_exception_fp_ieee_inexact 0
		.amdhsa_exception_int_div_zero 0
	.end_amdhsa_kernel
	.section	.text._ZN9rocsparseL17doti_kernel_part1ILj256ELj2EiaaiEEvT1_PKT2_PKS1_PKT3_PT4_21rocsparse_index_base_,"axG",@progbits,_ZN9rocsparseL17doti_kernel_part1ILj256ELj2EiaaiEEvT1_PKT2_PKS1_PKT3_PT4_21rocsparse_index_base_,comdat
.Lfunc_end12:
	.size	_ZN9rocsparseL17doti_kernel_part1ILj256ELj2EiaaiEEvT1_PKT2_PKS1_PKT3_PT4_21rocsparse_index_base_, .Lfunc_end12-_ZN9rocsparseL17doti_kernel_part1ILj256ELj2EiaaiEEvT1_PKT2_PKS1_PKT3_PT4_21rocsparse_index_base_
                                        ; -- End function
	.set _ZN9rocsparseL17doti_kernel_part1ILj256ELj2EiaaiEEvT1_PKT2_PKS1_PKT3_PT4_21rocsparse_index_base_.num_vgpr, 9
	.set _ZN9rocsparseL17doti_kernel_part1ILj256ELj2EiaaiEEvT1_PKT2_PKS1_PKT3_PT4_21rocsparse_index_base_.num_agpr, 0
	.set _ZN9rocsparseL17doti_kernel_part1ILj256ELj2EiaaiEEvT1_PKT2_PKS1_PKT3_PT4_21rocsparse_index_base_.numbered_sgpr, 15
	.set _ZN9rocsparseL17doti_kernel_part1ILj256ELj2EiaaiEEvT1_PKT2_PKS1_PKT3_PT4_21rocsparse_index_base_.num_named_barrier, 0
	.set _ZN9rocsparseL17doti_kernel_part1ILj256ELj2EiaaiEEvT1_PKT2_PKS1_PKT3_PT4_21rocsparse_index_base_.private_seg_size, 0
	.set _ZN9rocsparseL17doti_kernel_part1ILj256ELj2EiaaiEEvT1_PKT2_PKS1_PKT3_PT4_21rocsparse_index_base_.uses_vcc, 1
	.set _ZN9rocsparseL17doti_kernel_part1ILj256ELj2EiaaiEEvT1_PKT2_PKS1_PKT3_PT4_21rocsparse_index_base_.uses_flat_scratch, 0
	.set _ZN9rocsparseL17doti_kernel_part1ILj256ELj2EiaaiEEvT1_PKT2_PKS1_PKT3_PT4_21rocsparse_index_base_.has_dyn_sized_stack, 0
	.set _ZN9rocsparseL17doti_kernel_part1ILj256ELj2EiaaiEEvT1_PKT2_PKS1_PKT3_PT4_21rocsparse_index_base_.has_recursion, 0
	.set _ZN9rocsparseL17doti_kernel_part1ILj256ELj2EiaaiEEvT1_PKT2_PKS1_PKT3_PT4_21rocsparse_index_base_.has_indirect_call, 0
	.section	.AMDGPU.csdata,"",@progbits
; Kernel info:
; codeLenInByte = 976
; TotalNumSgprs: 17
; NumVgprs: 9
; ScratchSize: 0
; MemoryBound: 0
; FloatMode: 240
; IeeeMode: 1
; LDSByteSize: 1024 bytes/workgroup (compile time only)
; SGPRBlocks: 0
; VGPRBlocks: 0
; NumSGPRsForWavesPerEU: 17
; NumVGPRsForWavesPerEU: 9
; NamedBarCnt: 0
; Occupancy: 16
; WaveLimiterHint : 1
; COMPUTE_PGM_RSRC2:SCRATCH_EN: 0
; COMPUTE_PGM_RSRC2:USER_SGPR: 2
; COMPUTE_PGM_RSRC2:TRAP_HANDLER: 0
; COMPUTE_PGM_RSRC2:TGID_X_EN: 1
; COMPUTE_PGM_RSRC2:TGID_Y_EN: 0
; COMPUTE_PGM_RSRC2:TGID_Z_EN: 0
; COMPUTE_PGM_RSRC2:TIDIG_COMP_CNT: 0
	.section	.text._ZN9rocsparseL17doti_kernel_part2ILj256EiEEvPT0_S2_,"axG",@progbits,_ZN9rocsparseL17doti_kernel_part2ILj256EiEEvPT0_S2_,comdat
	.globl	_ZN9rocsparseL17doti_kernel_part2ILj256EiEEvPT0_S2_ ; -- Begin function _ZN9rocsparseL17doti_kernel_part2ILj256EiEEvPT0_S2_
	.p2align	8
	.type	_ZN9rocsparseL17doti_kernel_part2ILj256EiEEvPT0_S2_,@function
_ZN9rocsparseL17doti_kernel_part2ILj256EiEEvPT0_S2_: ; @_ZN9rocsparseL17doti_kernel_part2ILj256EiEEvPT0_S2_
; %bb.0:
	s_load_b128 s[0:3], s[0:1], 0x0
	v_lshlrev_b32_e32 v1, 2, v0
	s_mov_b32 s4, exec_lo
	s_wait_kmcnt 0x0
	global_load_b32 v2, v0, s[0:1] scale_offset
	s_wait_loadcnt 0x0
	ds_store_b32 v1, v2
	s_wait_dscnt 0x0
	s_barrier_signal -1
	s_barrier_wait -1
	v_cmpx_gt_u32_e32 0x80, v0
	s_cbranch_execz .LBB13_2
; %bb.1:
	ds_load_2addr_stride64_b32 v[2:3], v1 offset1:2
	s_wait_dscnt 0x0
	v_add_nc_u32_e32 v2, v3, v2
	ds_store_b32 v1, v2
.LBB13_2:
	s_or_b32 exec_lo, exec_lo, s4
	s_delay_alu instid0(SALU_CYCLE_1)
	s_mov_b32 s4, exec_lo
	s_wait_dscnt 0x0
	s_barrier_signal -1
	s_barrier_wait -1
	v_cmpx_gt_u32_e32 64, v0
	s_cbranch_execz .LBB13_4
; %bb.3:
	ds_load_2addr_stride64_b32 v[2:3], v1 offset1:1
	s_wait_dscnt 0x0
	v_add_nc_u32_e32 v2, v3, v2
	ds_store_b32 v1, v2
.LBB13_4:
	s_or_b32 exec_lo, exec_lo, s4
	s_delay_alu instid0(SALU_CYCLE_1)
	s_mov_b32 s4, exec_lo
	s_wait_dscnt 0x0
	s_barrier_signal -1
	s_barrier_wait -1
	v_cmpx_gt_u32_e32 32, v0
	s_cbranch_execz .LBB13_6
; %bb.5:
	ds_load_2addr_b32 v[2:3], v1 offset1:32
	s_wait_dscnt 0x0
	v_add_nc_u32_e32 v2, v3, v2
	ds_store_b32 v1, v2
.LBB13_6:
	s_or_b32 exec_lo, exec_lo, s4
	s_delay_alu instid0(SALU_CYCLE_1)
	s_mov_b32 s4, exec_lo
	s_wait_dscnt 0x0
	s_barrier_signal -1
	s_barrier_wait -1
	v_cmpx_gt_u32_e32 16, v0
	s_cbranch_execz .LBB13_8
; %bb.7:
	ds_load_2addr_b32 v[2:3], v1 offset1:16
	s_wait_dscnt 0x0
	v_add_nc_u32_e32 v2, v3, v2
	ds_store_b32 v1, v2
.LBB13_8:
	;; [unrolled: 14-line block ×5, first 2 shown]
	s_or_b32 exec_lo, exec_lo, s4
	v_cmp_eq_u32_e32 vcc_lo, 0, v0
	s_wait_dscnt 0x0
	s_barrier_signal -1
	s_barrier_wait -1
	s_and_saveexec_b32 s4, vcc_lo
	s_cbranch_execz .LBB13_16
; %bb.15:
	v_mov_b32_e32 v2, 0
	ds_load_b64 v[0:1], v2
	s_wait_dscnt 0x0
	v_add_nc_u32_e32 v0, v1, v0
	ds_store_b32 v2, v0
.LBB13_16:
	s_or_b32 exec_lo, exec_lo, s4
	s_wait_dscnt 0x0
	s_barrier_signal -1
	s_barrier_wait -1
	s_and_saveexec_b32 s4, vcc_lo
	s_cbranch_execz .LBB13_18
; %bb.17:
	v_mov_b32_e32 v0, 0
	s_cmp_eq_u64 s[2:3], 0
	s_cselect_b32 s1, s1, s3
	s_cselect_b32 s0, s0, s2
	ds_load_b32 v1, v0
	s_wait_dscnt 0x0
	global_store_b32 v0, v1, s[0:1]
.LBB13_18:
	s_endpgm
	.section	.rodata,"a",@progbits
	.p2align	6, 0x0
	.amdhsa_kernel _ZN9rocsparseL17doti_kernel_part2ILj256EiEEvPT0_S2_
		.amdhsa_group_segment_fixed_size 1024
		.amdhsa_private_segment_fixed_size 0
		.amdhsa_kernarg_size 16
		.amdhsa_user_sgpr_count 2
		.amdhsa_user_sgpr_dispatch_ptr 0
		.amdhsa_user_sgpr_queue_ptr 0
		.amdhsa_user_sgpr_kernarg_segment_ptr 1
		.amdhsa_user_sgpr_dispatch_id 0
		.amdhsa_user_sgpr_kernarg_preload_length 0
		.amdhsa_user_sgpr_kernarg_preload_offset 0
		.amdhsa_user_sgpr_private_segment_size 0
		.amdhsa_wavefront_size32 1
		.amdhsa_uses_dynamic_stack 0
		.amdhsa_enable_private_segment 0
		.amdhsa_system_sgpr_workgroup_id_x 1
		.amdhsa_system_sgpr_workgroup_id_y 0
		.amdhsa_system_sgpr_workgroup_id_z 0
		.amdhsa_system_sgpr_workgroup_info 0
		.amdhsa_system_vgpr_workitem_id 0
		.amdhsa_next_free_vgpr 4
		.amdhsa_next_free_sgpr 5
		.amdhsa_named_barrier_count 0
		.amdhsa_reserve_vcc 1
		.amdhsa_float_round_mode_32 0
		.amdhsa_float_round_mode_16_64 0
		.amdhsa_float_denorm_mode_32 3
		.amdhsa_float_denorm_mode_16_64 3
		.amdhsa_fp16_overflow 0
		.amdhsa_memory_ordered 1
		.amdhsa_forward_progress 1
		.amdhsa_inst_pref_size 5
		.amdhsa_round_robin_scheduling 0
		.amdhsa_exception_fp_ieee_invalid_op 0
		.amdhsa_exception_fp_denorm_src 0
		.amdhsa_exception_fp_ieee_div_zero 0
		.amdhsa_exception_fp_ieee_overflow 0
		.amdhsa_exception_fp_ieee_underflow 0
		.amdhsa_exception_fp_ieee_inexact 0
		.amdhsa_exception_int_div_zero 0
	.end_amdhsa_kernel
	.section	.text._ZN9rocsparseL17doti_kernel_part2ILj256EiEEvPT0_S2_,"axG",@progbits,_ZN9rocsparseL17doti_kernel_part2ILj256EiEEvPT0_S2_,comdat
.Lfunc_end13:
	.size	_ZN9rocsparseL17doti_kernel_part2ILj256EiEEvPT0_S2_, .Lfunc_end13-_ZN9rocsparseL17doti_kernel_part2ILj256EiEEvPT0_S2_
                                        ; -- End function
	.set _ZN9rocsparseL17doti_kernel_part2ILj256EiEEvPT0_S2_.num_vgpr, 4
	.set _ZN9rocsparseL17doti_kernel_part2ILj256EiEEvPT0_S2_.num_agpr, 0
	.set _ZN9rocsparseL17doti_kernel_part2ILj256EiEEvPT0_S2_.numbered_sgpr, 5
	.set _ZN9rocsparseL17doti_kernel_part2ILj256EiEEvPT0_S2_.num_named_barrier, 0
	.set _ZN9rocsparseL17doti_kernel_part2ILj256EiEEvPT0_S2_.private_seg_size, 0
	.set _ZN9rocsparseL17doti_kernel_part2ILj256EiEEvPT0_S2_.uses_vcc, 1
	.set _ZN9rocsparseL17doti_kernel_part2ILj256EiEEvPT0_S2_.uses_flat_scratch, 0
	.set _ZN9rocsparseL17doti_kernel_part2ILj256EiEEvPT0_S2_.has_dyn_sized_stack, 0
	.set _ZN9rocsparseL17doti_kernel_part2ILj256EiEEvPT0_S2_.has_recursion, 0
	.set _ZN9rocsparseL17doti_kernel_part2ILj256EiEEvPT0_S2_.has_indirect_call, 0
	.section	.AMDGPU.csdata,"",@progbits
; Kernel info:
; codeLenInByte = 552
; TotalNumSgprs: 7
; NumVgprs: 4
; ScratchSize: 0
; MemoryBound: 0
; FloatMode: 240
; IeeeMode: 1
; LDSByteSize: 1024 bytes/workgroup (compile time only)
; SGPRBlocks: 0
; VGPRBlocks: 0
; NumSGPRsForWavesPerEU: 7
; NumVGPRsForWavesPerEU: 4
; NamedBarCnt: 0
; Occupancy: 16
; WaveLimiterHint : 0
; COMPUTE_PGM_RSRC2:SCRATCH_EN: 0
; COMPUTE_PGM_RSRC2:USER_SGPR: 2
; COMPUTE_PGM_RSRC2:TRAP_HANDLER: 0
; COMPUTE_PGM_RSRC2:TGID_X_EN: 1
; COMPUTE_PGM_RSRC2:TGID_Y_EN: 0
; COMPUTE_PGM_RSRC2:TGID_Z_EN: 0
; COMPUTE_PGM_RSRC2:TIDIG_COMP_CNT: 0
	.section	.text._ZN9rocsparseL17doti_kernel_part1ILj256ELj2ElaaiEEvT1_PKT2_PKS1_PKT3_PT4_21rocsparse_index_base_,"axG",@progbits,_ZN9rocsparseL17doti_kernel_part1ILj256ELj2ElaaiEEvT1_PKT2_PKS1_PKT3_PT4_21rocsparse_index_base_,comdat
	.globl	_ZN9rocsparseL17doti_kernel_part1ILj256ELj2ElaaiEEvT1_PKT2_PKS1_PKT3_PT4_21rocsparse_index_base_ ; -- Begin function _ZN9rocsparseL17doti_kernel_part1ILj256ELj2ElaaiEEvT1_PKT2_PKS1_PKT3_PT4_21rocsparse_index_base_
	.p2align	8
	.type	_ZN9rocsparseL17doti_kernel_part1ILj256ELj2ElaaiEEvT1_PKT2_PKS1_PKT3_PT4_21rocsparse_index_base_,@function
_ZN9rocsparseL17doti_kernel_part1ILj256ELj2ElaaiEEvT1_PKT2_PKS1_PKT3_PT4_21rocsparse_index_base_: ; @_ZN9rocsparseL17doti_kernel_part1ILj256ELj2ElaaiEEvT1_PKT2_PKS1_PKT3_PT4_21rocsparse_index_base_
; %bb.0:
	s_clause 0x2
	s_load_b32 s21, s[0:1], 0x30
	s_load_b256 s[4:11], s[0:1], 0x0
	s_load_b96 s[12:14], s[0:1], 0x20
	s_wait_xcnt 0x0
	s_bfe_u32 s0, ttmp6, 0x4000c
	s_and_b32 s1, ttmp6, 15
	s_add_co_i32 s0, s0, 1
	s_getreg_b32 s2, hwreg(HW_REG_IB_STS2, 6, 4)
	s_mul_i32 s0, ttmp9, s0
	s_mov_b32 s3, 0
	s_add_co_i32 s1, s1, s0
	s_cmp_eq_u32 s2, 0
	v_mov_b32_e32 v3, 0
	s_cselect_b32 s20, ttmp9, s1
	s_delay_alu instid0(SALU_CYCLE_1) | instskip(NEXT) | instid1(SALU_CYCLE_1)
	s_lshl_b32 s1, s20, 8
	v_or_b32_e32 v2, s1, v0
	s_wait_kmcnt 0x0
	s_lshl_b32 s2, s21, 9
	s_delay_alu instid0(SALU_CYCLE_1)
	v_cmp_le_i64_e64 s0, s[4:5], s[2:3]
	s_and_b32 vcc_lo, exec_lo, s0
	s_mov_b32 s0, s14
	s_cbranch_vccnz .LBB14_3
; %bb.1:
	v_dual_mov_b32 v5, v3 :: v_dual_add_nc_u32 v4, s1, v2
	v_mov_b32_e32 v8, v3
	s_mov_b32 s1, s3
	s_lshl_b64 s[14:15], s[2:3], 3
	s_mov_b64 s[16:17], 0
	v_lshl_add_u64 v[6:7], v[4:5], 3, s[8:9]
	v_add_nc_u64_e32 v[4:5], s[6:7], v[4:5]
	s_delay_alu instid0(VALU_DEP_2)
	v_add_nc_u64_e32 v[6:7], 0x800, v[6:7]
.LBB14_2:                               ; =>This Inner Loop Header: Depth=1
	s_clause 0x1
	global_load_b64 v[10:11], v[6:7], off offset:-2048
	global_load_b64 v[12:13], v[6:7], off
	v_add_nc_u64_e32 v[14:15], s[16:17], v[4:5]
	s_add_nc_u64 s[16:17], s[16:17], s[2:3]
	s_wait_xcnt 0x0
	v_add_nc_u64_e32 v[6:7], s[14:15], v[6:7]
	s_add_nc_u64 s[18:19], s[2:3], s[16:17]
	s_delay_alu instid0(SALU_CYCLE_1)
	v_cmp_lt_i64_e64 s22, s[18:19], s[4:5]
	s_and_b32 vcc_lo, exec_lo, s22
	s_wait_loadcnt 0x1
	v_sub_nc_u64_e64 v[10:11], v[10:11], s[0:1]
	s_wait_loadcnt 0x0
	v_sub_nc_u64_e64 v[12:13], v[12:13], s[0:1]
	s_delay_alu instid0(VALU_DEP_2) | instskip(NEXT) | instid1(VALU_DEP_2)
	v_add_nc_u64_e32 v[10:11], s[10:11], v[10:11]
	v_add_nc_u64_e32 v[12:13], s[10:11], v[12:13]
	s_clause 0x1
	global_load_i8 v1, v[14:15], off
	global_load_i8 v9, v[14:15], off offset:256
	s_clause 0x1
	global_load_i8 v16, v[10:11], off
	global_load_i8 v17, v[12:13], off
	s_wait_loadcnt 0x2
	v_perm_b32 v1, v9, v1, 0xc0c0400
	s_wait_loadcnt 0x0
	v_perm_b32 v9, v17, v16, 0xc0c0400
	s_delay_alu instid0(VALU_DEP_1)
	v_dot4_i32_iu8 v8, v1, v9, v8 neg_lo:[1,1,0]
	s_cbranch_vccnz .LBB14_2
	s_branch .LBB14_4
.LBB14_3:
	v_mov_b32_e32 v8, 0
	s_mov_b64 s[18:19], s[2:3]
.LBB14_4:
	v_sub_nc_u64_e64 v[2:3], v[2:3], s[2:3]
	s_mov_b32 s14, exec_lo
	s_delay_alu instid0(VALU_DEP_1) | instskip(NEXT) | instid1(VALU_DEP_1)
	v_add_nc_u64_e32 v[2:3], s[18:19], v[2:3]
	v_cmpx_gt_i64_e64 s[4:5], v[2:3]
	s_cbranch_execz .LBB14_8
; %bb.5:
	s_mov_b32 s1, 0
	v_lshl_add_u64 v[4:5], v[2:3], 3, s[8:9]
	s_lshl_b32 s2, s21, 8
	s_mov_b32 s3, s1
	s_mov_b32 s15, s1
	s_lshl_b64 s[8:9], s[2:3], 3
.LBB14_6:                               ; =>This Inner Loop Header: Depth=1
	global_load_b64 v[6:7], v[4:5], off
	v_add_nc_u64_e32 v[10:11], s[6:7], v[2:3]
	v_add_nc_u64_e32 v[2:3], s[2:3], v[2:3]
	s_wait_xcnt 0x0
	v_add_nc_u64_e32 v[4:5], s[8:9], v[4:5]
	s_delay_alu instid0(VALU_DEP_2) | instskip(SKIP_3) | instid1(VALU_DEP_1)
	v_cmp_le_i64_e32 vcc_lo, s[4:5], v[2:3]
	s_or_b32 s15, vcc_lo, s15
	s_wait_loadcnt 0x0
	v_sub_nc_u64_e64 v[6:7], v[6:7], s[0:1]
	v_add_nc_u64_e32 v[6:7], s[10:11], v[6:7]
	global_load_i8 v1, v[10:11], off
	global_load_i8 v9, v[6:7], off
	s_wait_loadcnt 0x0
	v_mad_i32_i24 v8, v1, v9, v8
	s_and_not1_b32 exec_lo, exec_lo, s15
	s_cbranch_execnz .LBB14_6
; %bb.7:
	s_or_b32 exec_lo, exec_lo, s15
.LBB14_8:
	s_delay_alu instid0(SALU_CYCLE_1)
	s_or_b32 exec_lo, exec_lo, s14
	v_lshlrev_b32_e32 v1, 2, v0
	s_mov_b32 s0, exec_lo
	ds_store_b32 v1, v8
	s_wait_dscnt 0x0
	s_barrier_signal -1
	s_barrier_wait -1
	v_cmpx_gt_u32_e32 0x80, v0
	s_cbranch_execz .LBB14_10
; %bb.9:
	ds_load_2addr_stride64_b32 v[2:3], v1 offset1:2
	s_wait_dscnt 0x0
	v_add_nc_u32_e32 v2, v3, v2
	ds_store_b32 v1, v2
.LBB14_10:
	s_or_b32 exec_lo, exec_lo, s0
	s_delay_alu instid0(SALU_CYCLE_1)
	s_mov_b32 s0, exec_lo
	s_wait_dscnt 0x0
	s_barrier_signal -1
	s_barrier_wait -1
	v_cmpx_gt_u32_e32 64, v0
	s_cbranch_execz .LBB14_12
; %bb.11:
	ds_load_2addr_stride64_b32 v[2:3], v1 offset1:1
	s_wait_dscnt 0x0
	v_add_nc_u32_e32 v2, v3, v2
	ds_store_b32 v1, v2
.LBB14_12:
	s_or_b32 exec_lo, exec_lo, s0
	s_delay_alu instid0(SALU_CYCLE_1)
	s_mov_b32 s0, exec_lo
	s_wait_dscnt 0x0
	s_barrier_signal -1
	s_barrier_wait -1
	v_cmpx_gt_u32_e32 32, v0
	s_cbranch_execz .LBB14_14
; %bb.13:
	ds_load_2addr_b32 v[2:3], v1 offset1:32
	s_wait_dscnt 0x0
	v_add_nc_u32_e32 v2, v3, v2
	ds_store_b32 v1, v2
.LBB14_14:
	s_or_b32 exec_lo, exec_lo, s0
	s_delay_alu instid0(SALU_CYCLE_1)
	s_mov_b32 s0, exec_lo
	s_wait_dscnt 0x0
	s_barrier_signal -1
	s_barrier_wait -1
	v_cmpx_gt_u32_e32 16, v0
	s_cbranch_execz .LBB14_16
; %bb.15:
	ds_load_2addr_b32 v[2:3], v1 offset1:16
	s_wait_dscnt 0x0
	v_add_nc_u32_e32 v2, v3, v2
	ds_store_b32 v1, v2
.LBB14_16:
	;; [unrolled: 14-line block ×5, first 2 shown]
	s_or_b32 exec_lo, exec_lo, s0
	v_cmp_eq_u32_e32 vcc_lo, 0, v0
	s_wait_dscnt 0x0
	s_barrier_signal -1
	s_barrier_wait -1
	s_and_saveexec_b32 s0, vcc_lo
	s_cbranch_execz .LBB14_24
; %bb.23:
	v_mov_b32_e32 v2, 0
	ds_load_b64 v[0:1], v2
	s_wait_dscnt 0x0
	v_add_nc_u32_e32 v0, v1, v0
	ds_store_b32 v2, v0
.LBB14_24:
	s_or_b32 exec_lo, exec_lo, s0
	s_wait_dscnt 0x0
	s_barrier_signal -1
	s_barrier_wait -1
	s_and_saveexec_b32 s0, vcc_lo
	s_cbranch_execz .LBB14_26
; %bb.25:
	v_dual_mov_b32 v0, 0 :: v_dual_mov_b32 v1, s20
	ds_load_b32 v0, v0
	s_wait_dscnt 0x0
	global_store_b32 v1, v0, s[12:13] scale_offset
.LBB14_26:
	s_endpgm
	.section	.rodata,"a",@progbits
	.p2align	6, 0x0
	.amdhsa_kernel _ZN9rocsparseL17doti_kernel_part1ILj256ELj2ElaaiEEvT1_PKT2_PKS1_PKT3_PT4_21rocsparse_index_base_
		.amdhsa_group_segment_fixed_size 1024
		.amdhsa_private_segment_fixed_size 0
		.amdhsa_kernarg_size 304
		.amdhsa_user_sgpr_count 2
		.amdhsa_user_sgpr_dispatch_ptr 0
		.amdhsa_user_sgpr_queue_ptr 0
		.amdhsa_user_sgpr_kernarg_segment_ptr 1
		.amdhsa_user_sgpr_dispatch_id 0
		.amdhsa_user_sgpr_kernarg_preload_length 0
		.amdhsa_user_sgpr_kernarg_preload_offset 0
		.amdhsa_user_sgpr_private_segment_size 0
		.amdhsa_wavefront_size32 1
		.amdhsa_uses_dynamic_stack 0
		.amdhsa_enable_private_segment 0
		.amdhsa_system_sgpr_workgroup_id_x 1
		.amdhsa_system_sgpr_workgroup_id_y 0
		.amdhsa_system_sgpr_workgroup_id_z 0
		.amdhsa_system_sgpr_workgroup_info 0
		.amdhsa_system_vgpr_workitem_id 0
		.amdhsa_next_free_vgpr 18
		.amdhsa_next_free_sgpr 23
		.amdhsa_named_barrier_count 0
		.amdhsa_reserve_vcc 1
		.amdhsa_float_round_mode_32 0
		.amdhsa_float_round_mode_16_64 0
		.amdhsa_float_denorm_mode_32 3
		.amdhsa_float_denorm_mode_16_64 3
		.amdhsa_fp16_overflow 0
		.amdhsa_memory_ordered 1
		.amdhsa_forward_progress 1
		.amdhsa_inst_pref_size 9
		.amdhsa_round_robin_scheduling 0
		.amdhsa_exception_fp_ieee_invalid_op 0
		.amdhsa_exception_fp_denorm_src 0
		.amdhsa_exception_fp_ieee_div_zero 0
		.amdhsa_exception_fp_ieee_overflow 0
		.amdhsa_exception_fp_ieee_underflow 0
		.amdhsa_exception_fp_ieee_inexact 0
		.amdhsa_exception_int_div_zero 0
	.end_amdhsa_kernel
	.section	.text._ZN9rocsparseL17doti_kernel_part1ILj256ELj2ElaaiEEvT1_PKT2_PKS1_PKT3_PT4_21rocsparse_index_base_,"axG",@progbits,_ZN9rocsparseL17doti_kernel_part1ILj256ELj2ElaaiEEvT1_PKT2_PKS1_PKT3_PT4_21rocsparse_index_base_,comdat
.Lfunc_end14:
	.size	_ZN9rocsparseL17doti_kernel_part1ILj256ELj2ElaaiEEvT1_PKT2_PKS1_PKT3_PT4_21rocsparse_index_base_, .Lfunc_end14-_ZN9rocsparseL17doti_kernel_part1ILj256ELj2ElaaiEEvT1_PKT2_PKS1_PKT3_PT4_21rocsparse_index_base_
                                        ; -- End function
	.set _ZN9rocsparseL17doti_kernel_part1ILj256ELj2ElaaiEEvT1_PKT2_PKS1_PKT3_PT4_21rocsparse_index_base_.num_vgpr, 18
	.set _ZN9rocsparseL17doti_kernel_part1ILj256ELj2ElaaiEEvT1_PKT2_PKS1_PKT3_PT4_21rocsparse_index_base_.num_agpr, 0
	.set _ZN9rocsparseL17doti_kernel_part1ILj256ELj2ElaaiEEvT1_PKT2_PKS1_PKT3_PT4_21rocsparse_index_base_.numbered_sgpr, 23
	.set _ZN9rocsparseL17doti_kernel_part1ILj256ELj2ElaaiEEvT1_PKT2_PKS1_PKT3_PT4_21rocsparse_index_base_.num_named_barrier, 0
	.set _ZN9rocsparseL17doti_kernel_part1ILj256ELj2ElaaiEEvT1_PKT2_PKS1_PKT3_PT4_21rocsparse_index_base_.private_seg_size, 0
	.set _ZN9rocsparseL17doti_kernel_part1ILj256ELj2ElaaiEEvT1_PKT2_PKS1_PKT3_PT4_21rocsparse_index_base_.uses_vcc, 1
	.set _ZN9rocsparseL17doti_kernel_part1ILj256ELj2ElaaiEEvT1_PKT2_PKS1_PKT3_PT4_21rocsparse_index_base_.uses_flat_scratch, 0
	.set _ZN9rocsparseL17doti_kernel_part1ILj256ELj2ElaaiEEvT1_PKT2_PKS1_PKT3_PT4_21rocsparse_index_base_.has_dyn_sized_stack, 0
	.set _ZN9rocsparseL17doti_kernel_part1ILj256ELj2ElaaiEEvT1_PKT2_PKS1_PKT3_PT4_21rocsparse_index_base_.has_recursion, 0
	.set _ZN9rocsparseL17doti_kernel_part1ILj256ELj2ElaaiEEvT1_PKT2_PKS1_PKT3_PT4_21rocsparse_index_base_.has_indirect_call, 0
	.section	.AMDGPU.csdata,"",@progbits
; Kernel info:
; codeLenInByte = 1072
; TotalNumSgprs: 25
; NumVgprs: 18
; ScratchSize: 0
; MemoryBound: 0
; FloatMode: 240
; IeeeMode: 1
; LDSByteSize: 1024 bytes/workgroup (compile time only)
; SGPRBlocks: 0
; VGPRBlocks: 1
; NumSGPRsForWavesPerEU: 25
; NumVGPRsForWavesPerEU: 18
; NamedBarCnt: 0
; Occupancy: 16
; WaveLimiterHint : 1
; COMPUTE_PGM_RSRC2:SCRATCH_EN: 0
; COMPUTE_PGM_RSRC2:USER_SGPR: 2
; COMPUTE_PGM_RSRC2:TRAP_HANDLER: 0
; COMPUTE_PGM_RSRC2:TGID_X_EN: 1
; COMPUTE_PGM_RSRC2:TGID_Y_EN: 0
; COMPUTE_PGM_RSRC2:TGID_Z_EN: 0
; COMPUTE_PGM_RSRC2:TIDIG_COMP_CNT: 0
	.section	.text._ZN9rocsparseL17doti_kernel_part1ILj256ELj2EiDF16_DF16_fEEvT1_PKT2_PKS1_PKT3_PT4_21rocsparse_index_base_,"axG",@progbits,_ZN9rocsparseL17doti_kernel_part1ILj256ELj2EiDF16_DF16_fEEvT1_PKT2_PKS1_PKT3_PT4_21rocsparse_index_base_,comdat
	.globl	_ZN9rocsparseL17doti_kernel_part1ILj256ELj2EiDF16_DF16_fEEvT1_PKT2_PKS1_PKT3_PT4_21rocsparse_index_base_ ; -- Begin function _ZN9rocsparseL17doti_kernel_part1ILj256ELj2EiDF16_DF16_fEEvT1_PKT2_PKS1_PKT3_PT4_21rocsparse_index_base_
	.p2align	8
	.type	_ZN9rocsparseL17doti_kernel_part1ILj256ELj2EiDF16_DF16_fEEvT1_PKT2_PKS1_PKT3_PT4_21rocsparse_index_base_,@function
_ZN9rocsparseL17doti_kernel_part1ILj256ELj2EiDF16_DF16_fEEvT1_PKT2_PKS1_PKT3_PT4_21rocsparse_index_base_: ; @_ZN9rocsparseL17doti_kernel_part1ILj256ELj2EiDF16_DF16_fEEvT1_PKT2_PKS1_PKT3_PT4_21rocsparse_index_base_
; %bb.0:
	s_clause 0x3
	s_load_b32 s12, s[0:1], 0x30
	s_load_b32 s2, s[0:1], 0x0
	;; [unrolled: 1-line block ×3, first 2 shown]
	s_load_b256 s[4:11], s[0:1], 0x8
	s_wait_xcnt 0x0
	s_bfe_u32 s0, ttmp6, 0x4000c
	s_and_b32 s1, ttmp6, 15
	s_add_co_i32 s0, s0, 1
	s_getreg_b32 s13, hwreg(HW_REG_IB_STS2, 6, 4)
	s_mul_i32 s0, ttmp9, s0
	v_mov_b32_e32 v2, 0
	s_add_co_i32 s1, s1, s0
	s_cmp_eq_u32 s13, 0
	s_mov_b32 s13, 0
	s_cselect_b32 s0, ttmp9, s1
	s_wait_kmcnt 0x0
	s_lshl_b32 s1, s12, 9
	s_delay_alu instid0(SALU_CYCLE_1)
	s_cmp_ge_i32 s1, s2
	s_mov_b32 s14, s1
	s_cbranch_scc1 .LBB15_3
; %bb.1:
	v_lshl_or_b32 v1, s0, 9, v0
	v_mov_b32_e32 v2, 0
.LBB15_2:                               ; =>This Inner Loop Header: Depth=1
	s_delay_alu instid0(VALU_DEP_2) | instskip(SKIP_1) | instid1(SALU_CYCLE_1)
	v_add_nc_u32_e32 v3, s13, v1
	s_add_co_i32 s13, s13, s1
	s_add_co_i32 s14, s1, s13
	s_delay_alu instid0(SALU_CYCLE_1)
	s_cmp_lt_i32 s14, s2
	global_load_b32 v4, v3, s[6:7] scale_offset
	v_add_nc_u32_e32 v5, 0x100, v3
	global_load_b32 v6, v5, s[6:7] scale_offset
	global_load_u16 v7, v3, s[4:5] scale_offset
	s_wait_loadcnt 0x2
	s_wait_xcnt 0x0
	v_subrev_nc_u32_e32 v3, s3, v4
	global_load_u16 v4, v5, s[4:5] scale_offset
	global_load_u16 v8, v3, s[8:9] scale_offset
	s_wait_loadcnt 0x3
	s_wait_xcnt 0x0
	v_subrev_nc_u32_e32 v3, s3, v6
	global_load_u16 v3, v3, s[8:9] scale_offset
	s_wait_loadcnt 0x1
	v_fma_mix_f32 v2, v8, v7, v2 op_sel_hi:[1,1,0]
	s_wait_loadcnt 0x0
	s_delay_alu instid0(VALU_DEP_1)
	v_fma_mix_f32 v2, v3, v4, v2 op_sel_hi:[1,1,0]
	s_cbranch_scc1 .LBB15_2
.LBB15_3:
	v_lshl_or_b32 v1, s0, 8, v0
	s_delay_alu instid0(VALU_DEP_1) | instskip(SKIP_1) | instid1(VALU_DEP_1)
	v_subrev_nc_u32_e32 v1, s1, v1
	s_mov_b32 s1, exec_lo
	v_add_nc_u32_e32 v1, s14, v1
	s_delay_alu instid0(VALU_DEP_1)
	v_cmpx_gt_i32_e64 s2, v1
	s_cbranch_execz .LBB15_7
; %bb.4:
	s_lshl_b32 s13, s12, 8
	s_mov_b32 s12, 0
.LBB15_5:                               ; =>This Inner Loop Header: Depth=1
	s_clause 0x1
	global_load_b32 v3, v1, s[6:7] scale_offset
	global_load_u16 v4, v1, s[4:5] scale_offset
	s_wait_xcnt 0x0
	v_add_nc_u32_e32 v1, s13, v1
	s_delay_alu instid0(VALU_DEP_1)
	v_cmp_le_i32_e32 vcc_lo, s2, v1
	s_or_b32 s12, vcc_lo, s12
	s_wait_loadcnt 0x1
	v_subrev_nc_u32_e32 v3, s3, v3
	global_load_u16 v3, v3, s[8:9] scale_offset
	s_wait_loadcnt 0x0
	v_fma_mix_f32 v2, v3, v4, v2 op_sel_hi:[1,1,0]
	s_and_not1_b32 exec_lo, exec_lo, s12
	s_cbranch_execnz .LBB15_5
; %bb.6:
	s_or_b32 exec_lo, exec_lo, s12
.LBB15_7:
	s_delay_alu instid0(SALU_CYCLE_1)
	s_or_b32 exec_lo, exec_lo, s1
	v_lshlrev_b32_e32 v1, 2, v0
	s_mov_b32 s1, exec_lo
	ds_store_b32 v1, v2
	s_wait_dscnt 0x0
	s_barrier_signal -1
	s_barrier_wait -1
	v_cmpx_gt_u32_e32 0x80, v0
	s_cbranch_execz .LBB15_9
; %bb.8:
	ds_load_2addr_stride64_b32 v[2:3], v1 offset1:2
	s_wait_dscnt 0x0
	v_add_f32_e32 v2, v2, v3
	ds_store_b32 v1, v2
.LBB15_9:
	s_or_b32 exec_lo, exec_lo, s1
	s_delay_alu instid0(SALU_CYCLE_1)
	s_mov_b32 s1, exec_lo
	s_wait_dscnt 0x0
	s_barrier_signal -1
	s_barrier_wait -1
	v_cmpx_gt_u32_e32 64, v0
	s_cbranch_execz .LBB15_11
; %bb.10:
	ds_load_2addr_stride64_b32 v[2:3], v1 offset1:1
	s_wait_dscnt 0x0
	v_add_f32_e32 v2, v2, v3
	ds_store_b32 v1, v2
.LBB15_11:
	s_or_b32 exec_lo, exec_lo, s1
	s_delay_alu instid0(SALU_CYCLE_1)
	s_mov_b32 s1, exec_lo
	s_wait_dscnt 0x0
	s_barrier_signal -1
	s_barrier_wait -1
	v_cmpx_gt_u32_e32 32, v0
	s_cbranch_execz .LBB15_13
; %bb.12:
	ds_load_2addr_b32 v[2:3], v1 offset1:32
	s_wait_dscnt 0x0
	v_add_f32_e32 v2, v2, v3
	ds_store_b32 v1, v2
.LBB15_13:
	s_or_b32 exec_lo, exec_lo, s1
	s_delay_alu instid0(SALU_CYCLE_1)
	s_mov_b32 s1, exec_lo
	s_wait_dscnt 0x0
	s_barrier_signal -1
	s_barrier_wait -1
	v_cmpx_gt_u32_e32 16, v0
	s_cbranch_execz .LBB15_15
; %bb.14:
	ds_load_2addr_b32 v[2:3], v1 offset1:16
	s_wait_dscnt 0x0
	v_add_f32_e32 v2, v2, v3
	ds_store_b32 v1, v2
.LBB15_15:
	s_or_b32 exec_lo, exec_lo, s1
	s_delay_alu instid0(SALU_CYCLE_1)
	s_mov_b32 s1, exec_lo
	s_wait_dscnt 0x0
	s_barrier_signal -1
	s_barrier_wait -1
	v_cmpx_gt_u32_e32 8, v0
	s_cbranch_execz .LBB15_17
; %bb.16:
	ds_load_2addr_b32 v[2:3], v1 offset1:8
	s_wait_dscnt 0x0
	v_add_f32_e32 v2, v2, v3
	ds_store_b32 v1, v2
.LBB15_17:
	s_or_b32 exec_lo, exec_lo, s1
	s_delay_alu instid0(SALU_CYCLE_1)
	s_mov_b32 s1, exec_lo
	s_wait_dscnt 0x0
	s_barrier_signal -1
	s_barrier_wait -1
	v_cmpx_gt_u32_e32 4, v0
	s_cbranch_execz .LBB15_19
; %bb.18:
	ds_load_2addr_b32 v[2:3], v1 offset1:4
	s_wait_dscnt 0x0
	v_add_f32_e32 v2, v2, v3
	ds_store_b32 v1, v2
.LBB15_19:
	s_or_b32 exec_lo, exec_lo, s1
	s_delay_alu instid0(SALU_CYCLE_1)
	s_mov_b32 s1, exec_lo
	s_wait_dscnt 0x0
	s_barrier_signal -1
	s_barrier_wait -1
	v_cmpx_gt_u32_e32 2, v0
	s_cbranch_execz .LBB15_21
; %bb.20:
	ds_load_2addr_b32 v[2:3], v1 offset1:2
	s_wait_dscnt 0x0
	v_add_f32_e32 v2, v2, v3
	ds_store_b32 v1, v2
.LBB15_21:
	s_or_b32 exec_lo, exec_lo, s1
	v_cmp_eq_u32_e32 vcc_lo, 0, v0
	s_wait_dscnt 0x0
	s_barrier_signal -1
	s_barrier_wait -1
	s_and_saveexec_b32 s1, vcc_lo
	s_cbranch_execz .LBB15_23
; %bb.22:
	v_mov_b32_e32 v2, 0
	ds_load_b64 v[0:1], v2
	s_wait_dscnt 0x0
	v_add_f32_e32 v0, v0, v1
	ds_store_b32 v2, v0
.LBB15_23:
	s_or_b32 exec_lo, exec_lo, s1
	s_wait_dscnt 0x0
	s_barrier_signal -1
	s_barrier_wait -1
	s_and_saveexec_b32 s1, vcc_lo
	s_cbranch_execz .LBB15_25
; %bb.24:
	v_dual_mov_b32 v0, 0 :: v_dual_mov_b32 v1, s0
	ds_load_b32 v0, v0
	s_wait_dscnt 0x0
	global_store_b32 v1, v0, s[10:11] scale_offset
.LBB15_25:
	s_endpgm
	.section	.rodata,"a",@progbits
	.p2align	6, 0x0
	.amdhsa_kernel _ZN9rocsparseL17doti_kernel_part1ILj256ELj2EiDF16_DF16_fEEvT1_PKT2_PKS1_PKT3_PT4_21rocsparse_index_base_
		.amdhsa_group_segment_fixed_size 1024
		.amdhsa_private_segment_fixed_size 0
		.amdhsa_kernarg_size 304
		.amdhsa_user_sgpr_count 2
		.amdhsa_user_sgpr_dispatch_ptr 0
		.amdhsa_user_sgpr_queue_ptr 0
		.amdhsa_user_sgpr_kernarg_segment_ptr 1
		.amdhsa_user_sgpr_dispatch_id 0
		.amdhsa_user_sgpr_kernarg_preload_length 0
		.amdhsa_user_sgpr_kernarg_preload_offset 0
		.amdhsa_user_sgpr_private_segment_size 0
		.amdhsa_wavefront_size32 1
		.amdhsa_uses_dynamic_stack 0
		.amdhsa_enable_private_segment 0
		.amdhsa_system_sgpr_workgroup_id_x 1
		.amdhsa_system_sgpr_workgroup_id_y 0
		.amdhsa_system_sgpr_workgroup_id_z 0
		.amdhsa_system_sgpr_workgroup_info 0
		.amdhsa_system_vgpr_workitem_id 0
		.amdhsa_next_free_vgpr 9
		.amdhsa_next_free_sgpr 15
		.amdhsa_named_barrier_count 0
		.amdhsa_reserve_vcc 1
		.amdhsa_float_round_mode_32 0
		.amdhsa_float_round_mode_16_64 0
		.amdhsa_float_denorm_mode_32 3
		.amdhsa_float_denorm_mode_16_64 3
		.amdhsa_fp16_overflow 0
		.amdhsa_memory_ordered 1
		.amdhsa_forward_progress 1
		.amdhsa_inst_pref_size 8
		.amdhsa_round_robin_scheduling 0
		.amdhsa_exception_fp_ieee_invalid_op 0
		.amdhsa_exception_fp_denorm_src 0
		.amdhsa_exception_fp_ieee_div_zero 0
		.amdhsa_exception_fp_ieee_overflow 0
		.amdhsa_exception_fp_ieee_underflow 0
		.amdhsa_exception_fp_ieee_inexact 0
		.amdhsa_exception_int_div_zero 0
	.end_amdhsa_kernel
	.section	.text._ZN9rocsparseL17doti_kernel_part1ILj256ELj2EiDF16_DF16_fEEvT1_PKT2_PKS1_PKT3_PT4_21rocsparse_index_base_,"axG",@progbits,_ZN9rocsparseL17doti_kernel_part1ILj256ELj2EiDF16_DF16_fEEvT1_PKT2_PKS1_PKT3_PT4_21rocsparse_index_base_,comdat
.Lfunc_end15:
	.size	_ZN9rocsparseL17doti_kernel_part1ILj256ELj2EiDF16_DF16_fEEvT1_PKT2_PKS1_PKT3_PT4_21rocsparse_index_base_, .Lfunc_end15-_ZN9rocsparseL17doti_kernel_part1ILj256ELj2EiDF16_DF16_fEEvT1_PKT2_PKS1_PKT3_PT4_21rocsparse_index_base_
                                        ; -- End function
	.set _ZN9rocsparseL17doti_kernel_part1ILj256ELj2EiDF16_DF16_fEEvT1_PKT2_PKS1_PKT3_PT4_21rocsparse_index_base_.num_vgpr, 9
	.set _ZN9rocsparseL17doti_kernel_part1ILj256ELj2EiDF16_DF16_fEEvT1_PKT2_PKS1_PKT3_PT4_21rocsparse_index_base_.num_agpr, 0
	.set _ZN9rocsparseL17doti_kernel_part1ILj256ELj2EiDF16_DF16_fEEvT1_PKT2_PKS1_PKT3_PT4_21rocsparse_index_base_.numbered_sgpr, 15
	.set _ZN9rocsparseL17doti_kernel_part1ILj256ELj2EiDF16_DF16_fEEvT1_PKT2_PKS1_PKT3_PT4_21rocsparse_index_base_.num_named_barrier, 0
	.set _ZN9rocsparseL17doti_kernel_part1ILj256ELj2EiDF16_DF16_fEEvT1_PKT2_PKS1_PKT3_PT4_21rocsparse_index_base_.private_seg_size, 0
	.set _ZN9rocsparseL17doti_kernel_part1ILj256ELj2EiDF16_DF16_fEEvT1_PKT2_PKS1_PKT3_PT4_21rocsparse_index_base_.uses_vcc, 1
	.set _ZN9rocsparseL17doti_kernel_part1ILj256ELj2EiDF16_DF16_fEEvT1_PKT2_PKS1_PKT3_PT4_21rocsparse_index_base_.uses_flat_scratch, 0
	.set _ZN9rocsparseL17doti_kernel_part1ILj256ELj2EiDF16_DF16_fEEvT1_PKT2_PKS1_PKT3_PT4_21rocsparse_index_base_.has_dyn_sized_stack, 0
	.set _ZN9rocsparseL17doti_kernel_part1ILj256ELj2EiDF16_DF16_fEEvT1_PKT2_PKS1_PKT3_PT4_21rocsparse_index_base_.has_recursion, 0
	.set _ZN9rocsparseL17doti_kernel_part1ILj256ELj2EiDF16_DF16_fEEvT1_PKT2_PKS1_PKT3_PT4_21rocsparse_index_base_.has_indirect_call, 0
	.section	.AMDGPU.csdata,"",@progbits
; Kernel info:
; codeLenInByte = 944
; TotalNumSgprs: 17
; NumVgprs: 9
; ScratchSize: 0
; MemoryBound: 0
; FloatMode: 240
; IeeeMode: 1
; LDSByteSize: 1024 bytes/workgroup (compile time only)
; SGPRBlocks: 0
; VGPRBlocks: 0
; NumSGPRsForWavesPerEU: 17
; NumVGPRsForWavesPerEU: 9
; NamedBarCnt: 0
; Occupancy: 16
; WaveLimiterHint : 1
; COMPUTE_PGM_RSRC2:SCRATCH_EN: 0
; COMPUTE_PGM_RSRC2:USER_SGPR: 2
; COMPUTE_PGM_RSRC2:TRAP_HANDLER: 0
; COMPUTE_PGM_RSRC2:TGID_X_EN: 1
; COMPUTE_PGM_RSRC2:TGID_Y_EN: 0
; COMPUTE_PGM_RSRC2:TGID_Z_EN: 0
; COMPUTE_PGM_RSRC2:TIDIG_COMP_CNT: 0
	.section	.text._ZN9rocsparseL17doti_kernel_part1ILj256ELj2ElDF16_DF16_fEEvT1_PKT2_PKS1_PKT3_PT4_21rocsparse_index_base_,"axG",@progbits,_ZN9rocsparseL17doti_kernel_part1ILj256ELj2ElDF16_DF16_fEEvT1_PKT2_PKS1_PKT3_PT4_21rocsparse_index_base_,comdat
	.globl	_ZN9rocsparseL17doti_kernel_part1ILj256ELj2ElDF16_DF16_fEEvT1_PKT2_PKS1_PKT3_PT4_21rocsparse_index_base_ ; -- Begin function _ZN9rocsparseL17doti_kernel_part1ILj256ELj2ElDF16_DF16_fEEvT1_PKT2_PKS1_PKT3_PT4_21rocsparse_index_base_
	.p2align	8
	.type	_ZN9rocsparseL17doti_kernel_part1ILj256ELj2ElDF16_DF16_fEEvT1_PKT2_PKS1_PKT3_PT4_21rocsparse_index_base_,@function
_ZN9rocsparseL17doti_kernel_part1ILj256ELj2ElDF16_DF16_fEEvT1_PKT2_PKS1_PKT3_PT4_21rocsparse_index_base_: ; @_ZN9rocsparseL17doti_kernel_part1ILj256ELj2ElDF16_DF16_fEEvT1_PKT2_PKS1_PKT3_PT4_21rocsparse_index_base_
; %bb.0:
	s_clause 0x2
	s_load_b32 s21, s[0:1], 0x30
	s_load_b256 s[4:11], s[0:1], 0x0
	s_load_b96 s[12:14], s[0:1], 0x20
	s_wait_xcnt 0x0
	s_bfe_u32 s0, ttmp6, 0x4000c
	s_and_b32 s1, ttmp6, 15
	s_add_co_i32 s0, s0, 1
	s_getreg_b32 s2, hwreg(HW_REG_IB_STS2, 6, 4)
	s_mul_i32 s0, ttmp9, s0
	s_mov_b32 s3, 0
	s_add_co_i32 s1, s1, s0
	s_cmp_eq_u32 s2, 0
	v_mov_b32_e32 v5, 0
	s_cselect_b32 s20, ttmp9, s1
	s_delay_alu instid0(SALU_CYCLE_1) | instskip(NEXT) | instid1(SALU_CYCLE_1)
	s_lshl_b32 s1, s20, 8
	v_or_b32_e32 v4, s1, v0
	s_wait_kmcnt 0x0
	s_lshl_b32 s2, s21, 9
	s_delay_alu instid0(SALU_CYCLE_1)
	v_cmp_le_i64_e64 s0, s[4:5], s[2:3]
	s_and_b32 vcc_lo, exec_lo, s0
	s_mov_b32 s0, s14
	s_cbranch_vccnz .LBB16_3
; %bb.1:
	v_dual_mov_b32 v3, 0 :: v_dual_add_nc_u32 v2, s1, v4
	s_mov_b32 s1, s3
	s_lshl_b64 s[16:17], s[2:3], 1
	s_lshl_b64 s[18:19], s[2:3], 3
	s_mov_b64 s[14:15], s[2:3]
	v_lshl_add_u64 v[6:7], v[2:3], 1, s[6:7]
	v_lshl_add_u64 v[8:9], v[2:3], 3, s[8:9]
	s_delay_alu instid0(VALU_DEP_2) | instskip(NEXT) | instid1(VALU_DEP_2)
	v_add_nc_u64_e32 v[6:7], 0x200, v[6:7]
	v_add_nc_u64_e32 v[8:9], 0x800, v[8:9]
.LBB16_2:                               ; =>This Inner Loop Header: Depth=1
	s_clause 0x1
	global_load_b64 v[10:11], v[8:9], off offset:-2048
	global_load_b64 v[12:13], v[8:9], off
	global_load_u16 v1, v[6:7], off offset:-512
	s_add_nc_u64 s[14:15], s[14:15], s[2:3]
	s_wait_xcnt 0x1
	v_add_nc_u64_e32 v[8:9], s[18:19], v[8:9]
	v_cmp_lt_i64_e64 s22, s[14:15], s[4:5]
	s_and_b32 vcc_lo, exec_lo, s22
	s_wait_loadcnt 0x2
	v_sub_nc_u64_e64 v[10:11], v[10:11], s[0:1]
	s_wait_loadcnt 0x1
	v_sub_nc_u64_e64 v[12:13], v[12:13], s[0:1]
	s_delay_alu instid0(VALU_DEP_2) | instskip(NEXT) | instid1(VALU_DEP_2)
	v_lshl_add_u64 v[10:11], v[10:11], 1, s[10:11]
	v_lshl_add_u64 v[12:13], v[12:13], 1, s[10:11]
	global_load_u16 v2, v[10:11], off
	global_load_u16 v14, v[6:7], off
	;; [unrolled: 1-line block ×3, first 2 shown]
	s_wait_xcnt 0x1
	v_add_nc_u64_e32 v[6:7], s[16:17], v[6:7]
	s_wait_loadcnt 0x2
	v_fma_mix_f32 v1, v2, v1, v3 op_sel_hi:[1,1,0]
	s_wait_loadcnt 0x0
	s_delay_alu instid0(VALU_DEP_1)
	v_fma_mix_f32 v3, v15, v14, v1 op_sel_hi:[1,1,0]
	s_cbranch_vccnz .LBB16_2
	s_branch .LBB16_4
.LBB16_3:
	v_mov_b32_e32 v3, v5
	s_mov_b64 s[14:15], s[2:3]
.LBB16_4:
	v_sub_nc_u64_e64 v[4:5], v[4:5], s[2:3]
	s_delay_alu instid0(VALU_DEP_1) | instskip(SKIP_1) | instid1(VALU_DEP_1)
	v_add_nc_u64_e32 v[4:5], s[14:15], v[4:5]
	s_mov_b32 s14, exec_lo
	v_cmpx_gt_i64_e64 s[4:5], v[4:5]
	s_cbranch_execz .LBB16_8
; %bb.5:
	s_mov_b32 s1, 0
	v_lshl_add_u64 v[6:7], v[4:5], 1, s[6:7]
	v_lshl_add_u64 v[8:9], v[4:5], 3, s[8:9]
	s_lshl_b32 s2, s21, 8
	s_mov_b32 s3, s1
	s_mov_b32 s15, s1
	s_lshl_b64 s[6:7], s[2:3], 1
	s_lshl_b64 s[8:9], s[2:3], 3
.LBB16_6:                               ; =>This Inner Loop Header: Depth=1
	global_load_b64 v[10:11], v[8:9], off
	v_add_nc_u64_e32 v[4:5], s[2:3], v[4:5]
	s_wait_xcnt 0x0
	v_add_nc_u64_e32 v[8:9], s[8:9], v[8:9]
	s_delay_alu instid0(VALU_DEP_2) | instskip(SKIP_3) | instid1(VALU_DEP_1)
	v_cmp_le_i64_e32 vcc_lo, s[4:5], v[4:5]
	s_or_b32 s15, vcc_lo, s15
	s_wait_loadcnt 0x0
	v_sub_nc_u64_e64 v[10:11], v[10:11], s[0:1]
	v_lshl_add_u64 v[10:11], v[10:11], 1, s[10:11]
	global_load_u16 v1, v[6:7], off
	global_load_u16 v2, v[10:11], off
	s_wait_xcnt 0x1
	v_add_nc_u64_e32 v[6:7], s[6:7], v[6:7]
	s_wait_loadcnt 0x0
	v_fma_mix_f32 v3, v2, v1, v3 op_sel_hi:[1,1,0]
	s_and_not1_b32 exec_lo, exec_lo, s15
	s_cbranch_execnz .LBB16_6
; %bb.7:
	s_or_b32 exec_lo, exec_lo, s15
.LBB16_8:
	s_delay_alu instid0(SALU_CYCLE_1)
	s_or_b32 exec_lo, exec_lo, s14
	v_lshlrev_b32_e32 v1, 2, v0
	s_mov_b32 s0, exec_lo
	ds_store_b32 v1, v3
	s_wait_dscnt 0x0
	s_barrier_signal -1
	s_barrier_wait -1
	v_cmpx_gt_u32_e32 0x80, v0
	s_cbranch_execz .LBB16_10
; %bb.9:
	ds_load_2addr_stride64_b32 v[2:3], v1 offset1:2
	s_wait_dscnt 0x0
	v_add_f32_e32 v2, v2, v3
	ds_store_b32 v1, v2
.LBB16_10:
	s_or_b32 exec_lo, exec_lo, s0
	s_delay_alu instid0(SALU_CYCLE_1)
	s_mov_b32 s0, exec_lo
	s_wait_dscnt 0x0
	s_barrier_signal -1
	s_barrier_wait -1
	v_cmpx_gt_u32_e32 64, v0
	s_cbranch_execz .LBB16_12
; %bb.11:
	ds_load_2addr_stride64_b32 v[2:3], v1 offset1:1
	s_wait_dscnt 0x0
	v_add_f32_e32 v2, v2, v3
	ds_store_b32 v1, v2
.LBB16_12:
	s_or_b32 exec_lo, exec_lo, s0
	s_delay_alu instid0(SALU_CYCLE_1)
	s_mov_b32 s0, exec_lo
	s_wait_dscnt 0x0
	s_barrier_signal -1
	s_barrier_wait -1
	v_cmpx_gt_u32_e32 32, v0
	s_cbranch_execz .LBB16_14
; %bb.13:
	ds_load_2addr_b32 v[2:3], v1 offset1:32
	s_wait_dscnt 0x0
	v_add_f32_e32 v2, v2, v3
	ds_store_b32 v1, v2
.LBB16_14:
	s_or_b32 exec_lo, exec_lo, s0
	s_delay_alu instid0(SALU_CYCLE_1)
	s_mov_b32 s0, exec_lo
	s_wait_dscnt 0x0
	s_barrier_signal -1
	s_barrier_wait -1
	v_cmpx_gt_u32_e32 16, v0
	s_cbranch_execz .LBB16_16
; %bb.15:
	ds_load_2addr_b32 v[2:3], v1 offset1:16
	s_wait_dscnt 0x0
	v_add_f32_e32 v2, v2, v3
	ds_store_b32 v1, v2
.LBB16_16:
	s_or_b32 exec_lo, exec_lo, s0
	s_delay_alu instid0(SALU_CYCLE_1)
	s_mov_b32 s0, exec_lo
	s_wait_dscnt 0x0
	s_barrier_signal -1
	s_barrier_wait -1
	v_cmpx_gt_u32_e32 8, v0
	s_cbranch_execz .LBB16_18
; %bb.17:
	ds_load_2addr_b32 v[2:3], v1 offset1:8
	s_wait_dscnt 0x0
	v_add_f32_e32 v2, v2, v3
	ds_store_b32 v1, v2
.LBB16_18:
	s_or_b32 exec_lo, exec_lo, s0
	s_delay_alu instid0(SALU_CYCLE_1)
	s_mov_b32 s0, exec_lo
	s_wait_dscnt 0x0
	s_barrier_signal -1
	s_barrier_wait -1
	v_cmpx_gt_u32_e32 4, v0
	s_cbranch_execz .LBB16_20
; %bb.19:
	ds_load_2addr_b32 v[2:3], v1 offset1:4
	s_wait_dscnt 0x0
	v_add_f32_e32 v2, v2, v3
	ds_store_b32 v1, v2
.LBB16_20:
	s_or_b32 exec_lo, exec_lo, s0
	s_delay_alu instid0(SALU_CYCLE_1)
	s_mov_b32 s0, exec_lo
	s_wait_dscnt 0x0
	s_barrier_signal -1
	s_barrier_wait -1
	v_cmpx_gt_u32_e32 2, v0
	s_cbranch_execz .LBB16_22
; %bb.21:
	ds_load_2addr_b32 v[2:3], v1 offset1:2
	s_wait_dscnt 0x0
	v_add_f32_e32 v2, v2, v3
	ds_store_b32 v1, v2
.LBB16_22:
	s_or_b32 exec_lo, exec_lo, s0
	v_cmp_eq_u32_e32 vcc_lo, 0, v0
	s_wait_dscnt 0x0
	s_barrier_signal -1
	s_barrier_wait -1
	s_and_saveexec_b32 s0, vcc_lo
	s_cbranch_execz .LBB16_24
; %bb.23:
	v_mov_b32_e32 v2, 0
	ds_load_b64 v[0:1], v2
	s_wait_dscnt 0x0
	v_add_f32_e32 v0, v0, v1
	ds_store_b32 v2, v0
.LBB16_24:
	s_or_b32 exec_lo, exec_lo, s0
	s_wait_dscnt 0x0
	s_barrier_signal -1
	s_barrier_wait -1
	s_and_saveexec_b32 s0, vcc_lo
	s_cbranch_execz .LBB16_26
; %bb.25:
	v_dual_mov_b32 v0, 0 :: v_dual_mov_b32 v1, s20
	ds_load_b32 v0, v0
	s_wait_dscnt 0x0
	global_store_b32 v1, v0, s[12:13] scale_offset
.LBB16_26:
	s_endpgm
	.section	.rodata,"a",@progbits
	.p2align	6, 0x0
	.amdhsa_kernel _ZN9rocsparseL17doti_kernel_part1ILj256ELj2ElDF16_DF16_fEEvT1_PKT2_PKS1_PKT3_PT4_21rocsparse_index_base_
		.amdhsa_group_segment_fixed_size 1024
		.amdhsa_private_segment_fixed_size 0
		.amdhsa_kernarg_size 304
		.amdhsa_user_sgpr_count 2
		.amdhsa_user_sgpr_dispatch_ptr 0
		.amdhsa_user_sgpr_queue_ptr 0
		.amdhsa_user_sgpr_kernarg_segment_ptr 1
		.amdhsa_user_sgpr_dispatch_id 0
		.amdhsa_user_sgpr_kernarg_preload_length 0
		.amdhsa_user_sgpr_kernarg_preload_offset 0
		.amdhsa_user_sgpr_private_segment_size 0
		.amdhsa_wavefront_size32 1
		.amdhsa_uses_dynamic_stack 0
		.amdhsa_enable_private_segment 0
		.amdhsa_system_sgpr_workgroup_id_x 1
		.amdhsa_system_sgpr_workgroup_id_y 0
		.amdhsa_system_sgpr_workgroup_id_z 0
		.amdhsa_system_sgpr_workgroup_info 0
		.amdhsa_system_vgpr_workitem_id 0
		.amdhsa_next_free_vgpr 16
		.amdhsa_next_free_sgpr 23
		.amdhsa_named_barrier_count 0
		.amdhsa_reserve_vcc 1
		.amdhsa_float_round_mode_32 0
		.amdhsa_float_round_mode_16_64 0
		.amdhsa_float_denorm_mode_32 3
		.amdhsa_float_denorm_mode_16_64 3
		.amdhsa_fp16_overflow 0
		.amdhsa_memory_ordered 1
		.amdhsa_forward_progress 1
		.amdhsa_inst_pref_size 9
		.amdhsa_round_robin_scheduling 0
		.amdhsa_exception_fp_ieee_invalid_op 0
		.amdhsa_exception_fp_denorm_src 0
		.amdhsa_exception_fp_ieee_div_zero 0
		.amdhsa_exception_fp_ieee_overflow 0
		.amdhsa_exception_fp_ieee_underflow 0
		.amdhsa_exception_fp_ieee_inexact 0
		.amdhsa_exception_int_div_zero 0
	.end_amdhsa_kernel
	.section	.text._ZN9rocsparseL17doti_kernel_part1ILj256ELj2ElDF16_DF16_fEEvT1_PKT2_PKS1_PKT3_PT4_21rocsparse_index_base_,"axG",@progbits,_ZN9rocsparseL17doti_kernel_part1ILj256ELj2ElDF16_DF16_fEEvT1_PKT2_PKS1_PKT3_PT4_21rocsparse_index_base_,comdat
.Lfunc_end16:
	.size	_ZN9rocsparseL17doti_kernel_part1ILj256ELj2ElDF16_DF16_fEEvT1_PKT2_PKS1_PKT3_PT4_21rocsparse_index_base_, .Lfunc_end16-_ZN9rocsparseL17doti_kernel_part1ILj256ELj2ElDF16_DF16_fEEvT1_PKT2_PKS1_PKT3_PT4_21rocsparse_index_base_
                                        ; -- End function
	.set _ZN9rocsparseL17doti_kernel_part1ILj256ELj2ElDF16_DF16_fEEvT1_PKT2_PKS1_PKT3_PT4_21rocsparse_index_base_.num_vgpr, 16
	.set _ZN9rocsparseL17doti_kernel_part1ILj256ELj2ElDF16_DF16_fEEvT1_PKT2_PKS1_PKT3_PT4_21rocsparse_index_base_.num_agpr, 0
	.set _ZN9rocsparseL17doti_kernel_part1ILj256ELj2ElDF16_DF16_fEEvT1_PKT2_PKS1_PKT3_PT4_21rocsparse_index_base_.numbered_sgpr, 23
	.set _ZN9rocsparseL17doti_kernel_part1ILj256ELj2ElDF16_DF16_fEEvT1_PKT2_PKS1_PKT3_PT4_21rocsparse_index_base_.num_named_barrier, 0
	.set _ZN9rocsparseL17doti_kernel_part1ILj256ELj2ElDF16_DF16_fEEvT1_PKT2_PKS1_PKT3_PT4_21rocsparse_index_base_.private_seg_size, 0
	.set _ZN9rocsparseL17doti_kernel_part1ILj256ELj2ElDF16_DF16_fEEvT1_PKT2_PKS1_PKT3_PT4_21rocsparse_index_base_.uses_vcc, 1
	.set _ZN9rocsparseL17doti_kernel_part1ILj256ELj2ElDF16_DF16_fEEvT1_PKT2_PKS1_PKT3_PT4_21rocsparse_index_base_.uses_flat_scratch, 0
	.set _ZN9rocsparseL17doti_kernel_part1ILj256ELj2ElDF16_DF16_fEEvT1_PKT2_PKS1_PKT3_PT4_21rocsparse_index_base_.has_dyn_sized_stack, 0
	.set _ZN9rocsparseL17doti_kernel_part1ILj256ELj2ElDF16_DF16_fEEvT1_PKT2_PKS1_PKT3_PT4_21rocsparse_index_base_.has_recursion, 0
	.set _ZN9rocsparseL17doti_kernel_part1ILj256ELj2ElDF16_DF16_fEEvT1_PKT2_PKS1_PKT3_PT4_21rocsparse_index_base_.has_indirect_call, 0
	.section	.AMDGPU.csdata,"",@progbits
; Kernel info:
; codeLenInByte = 1084
; TotalNumSgprs: 25
; NumVgprs: 16
; ScratchSize: 0
; MemoryBound: 0
; FloatMode: 240
; IeeeMode: 1
; LDSByteSize: 1024 bytes/workgroup (compile time only)
; SGPRBlocks: 0
; VGPRBlocks: 0
; NumSGPRsForWavesPerEU: 25
; NumVGPRsForWavesPerEU: 16
; NamedBarCnt: 0
; Occupancy: 16
; WaveLimiterHint : 1
; COMPUTE_PGM_RSRC2:SCRATCH_EN: 0
; COMPUTE_PGM_RSRC2:USER_SGPR: 2
; COMPUTE_PGM_RSRC2:TRAP_HANDLER: 0
; COMPUTE_PGM_RSRC2:TGID_X_EN: 1
; COMPUTE_PGM_RSRC2:TGID_Y_EN: 0
; COMPUTE_PGM_RSRC2:TGID_Z_EN: 0
; COMPUTE_PGM_RSRC2:TIDIG_COMP_CNT: 0
	.section	.text._ZN9rocsparseL17doti_kernel_part1ILj256ELj2Ei18rocsparse_bfloat16S1_fEEvT1_PKT2_PKS2_PKT3_PT4_21rocsparse_index_base_,"axG",@progbits,_ZN9rocsparseL17doti_kernel_part1ILj256ELj2Ei18rocsparse_bfloat16S1_fEEvT1_PKT2_PKS2_PKT3_PT4_21rocsparse_index_base_,comdat
	.globl	_ZN9rocsparseL17doti_kernel_part1ILj256ELj2Ei18rocsparse_bfloat16S1_fEEvT1_PKT2_PKS2_PKT3_PT4_21rocsparse_index_base_ ; -- Begin function _ZN9rocsparseL17doti_kernel_part1ILj256ELj2Ei18rocsparse_bfloat16S1_fEEvT1_PKT2_PKS2_PKT3_PT4_21rocsparse_index_base_
	.p2align	8
	.type	_ZN9rocsparseL17doti_kernel_part1ILj256ELj2Ei18rocsparse_bfloat16S1_fEEvT1_PKT2_PKS2_PKT3_PT4_21rocsparse_index_base_,@function
_ZN9rocsparseL17doti_kernel_part1ILj256ELj2Ei18rocsparse_bfloat16S1_fEEvT1_PKT2_PKS2_PKT3_PT4_21rocsparse_index_base_: ; @_ZN9rocsparseL17doti_kernel_part1ILj256ELj2Ei18rocsparse_bfloat16S1_fEEvT1_PKT2_PKS2_PKT3_PT4_21rocsparse_index_base_
; %bb.0:
	s_clause 0x3
	s_load_b32 s12, s[0:1], 0x30
	s_load_b32 s2, s[0:1], 0x0
	;; [unrolled: 1-line block ×3, first 2 shown]
	s_load_b256 s[4:11], s[0:1], 0x8
	s_wait_xcnt 0x0
	s_bfe_u32 s0, ttmp6, 0x4000c
	s_and_b32 s1, ttmp6, 15
	s_add_co_i32 s0, s0, 1
	s_getreg_b32 s13, hwreg(HW_REG_IB_STS2, 6, 4)
	s_mul_i32 s0, ttmp9, s0
	v_mov_b32_e32 v2, 0
	s_add_co_i32 s1, s1, s0
	s_cmp_eq_u32 s13, 0
	s_mov_b32 s13, 0
	s_cselect_b32 s0, ttmp9, s1
	s_wait_kmcnt 0x0
	s_lshl_b32 s1, s12, 9
	s_delay_alu instid0(SALU_CYCLE_1)
	s_cmp_ge_i32 s1, s2
	s_mov_b32 s14, s1
	s_cbranch_scc1 .LBB17_3
; %bb.1:
	v_lshl_or_b32 v1, s0, 9, v0
	v_mov_b32_e32 v2, 0
.LBB17_2:                               ; =>This Inner Loop Header: Depth=1
	s_delay_alu instid0(VALU_DEP_2) | instskip(SKIP_1) | instid1(SALU_CYCLE_1)
	v_add_nc_u32_e32 v3, s13, v1
	s_add_co_i32 s13, s13, s1
	s_add_co_i32 s14, s1, s13
	s_delay_alu instid0(SALU_CYCLE_1)
	s_cmp_lt_i32 s14, s2
	global_load_b32 v4, v3, s[6:7] scale_offset
	v_add_nc_u32_e32 v5, 0x100, v3
	global_load_b32 v6, v5, s[6:7] scale_offset
	global_load_u16 v7, v3, s[4:5] scale_offset
	s_wait_loadcnt 0x2
	s_wait_xcnt 0x0
	v_subrev_nc_u32_e32 v3, s3, v4
	global_load_u16 v4, v5, s[4:5] scale_offset
	global_load_u16 v8, v3, s[8:9] scale_offset
	s_wait_loadcnt 0x3
	s_wait_xcnt 0x0
	v_subrev_nc_u32_e32 v3, s3, v6
	global_load_u16 v3, v3, s[8:9] scale_offset
	s_wait_loadcnt 0x1
	v_fma_mix_f32_bf16 v2, v8, v7, v2 op_sel_hi:[1,1,0]
	s_wait_loadcnt 0x0
	s_delay_alu instid0(VALU_DEP_1)
	v_fma_mix_f32_bf16 v2, v3, v4, v2 op_sel_hi:[1,1,0]
	s_cbranch_scc1 .LBB17_2
.LBB17_3:
	v_lshl_or_b32 v1, s0, 8, v0
	s_delay_alu instid0(VALU_DEP_1) | instskip(SKIP_1) | instid1(VALU_DEP_1)
	v_subrev_nc_u32_e32 v1, s1, v1
	s_mov_b32 s1, exec_lo
	v_add_nc_u32_e32 v1, s14, v1
	s_delay_alu instid0(VALU_DEP_1)
	v_cmpx_gt_i32_e64 s2, v1
	s_cbranch_execz .LBB17_7
; %bb.4:
	s_lshl_b32 s13, s12, 8
	s_mov_b32 s12, 0
.LBB17_5:                               ; =>This Inner Loop Header: Depth=1
	s_clause 0x1
	global_load_b32 v3, v1, s[6:7] scale_offset
	global_load_u16 v4, v1, s[4:5] scale_offset
	s_wait_xcnt 0x0
	v_add_nc_u32_e32 v1, s13, v1
	s_delay_alu instid0(VALU_DEP_1)
	v_cmp_le_i32_e32 vcc_lo, s2, v1
	s_or_b32 s12, vcc_lo, s12
	s_wait_loadcnt 0x1
	v_subrev_nc_u32_e32 v3, s3, v3
	global_load_u16 v3, v3, s[8:9] scale_offset
	s_wait_loadcnt 0x0
	v_fma_mix_f32_bf16 v2, v3, v4, v2 op_sel_hi:[1,1,0]
	s_and_not1_b32 exec_lo, exec_lo, s12
	s_cbranch_execnz .LBB17_5
; %bb.6:
	s_or_b32 exec_lo, exec_lo, s12
.LBB17_7:
	s_delay_alu instid0(SALU_CYCLE_1)
	s_or_b32 exec_lo, exec_lo, s1
	v_lshlrev_b32_e32 v1, 2, v0
	s_mov_b32 s1, exec_lo
	ds_store_b32 v1, v2
	s_wait_dscnt 0x0
	s_barrier_signal -1
	s_barrier_wait -1
	v_cmpx_gt_u32_e32 0x80, v0
	s_cbranch_execz .LBB17_9
; %bb.8:
	ds_load_2addr_stride64_b32 v[2:3], v1 offset1:2
	s_wait_dscnt 0x0
	v_add_f32_e32 v2, v2, v3
	ds_store_b32 v1, v2
.LBB17_9:
	s_or_b32 exec_lo, exec_lo, s1
	s_delay_alu instid0(SALU_CYCLE_1)
	s_mov_b32 s1, exec_lo
	s_wait_dscnt 0x0
	s_barrier_signal -1
	s_barrier_wait -1
	v_cmpx_gt_u32_e32 64, v0
	s_cbranch_execz .LBB17_11
; %bb.10:
	ds_load_2addr_stride64_b32 v[2:3], v1 offset1:1
	s_wait_dscnt 0x0
	v_add_f32_e32 v2, v2, v3
	ds_store_b32 v1, v2
.LBB17_11:
	s_or_b32 exec_lo, exec_lo, s1
	s_delay_alu instid0(SALU_CYCLE_1)
	s_mov_b32 s1, exec_lo
	s_wait_dscnt 0x0
	s_barrier_signal -1
	s_barrier_wait -1
	v_cmpx_gt_u32_e32 32, v0
	s_cbranch_execz .LBB17_13
; %bb.12:
	ds_load_2addr_b32 v[2:3], v1 offset1:32
	s_wait_dscnt 0x0
	v_add_f32_e32 v2, v2, v3
	ds_store_b32 v1, v2
.LBB17_13:
	s_or_b32 exec_lo, exec_lo, s1
	s_delay_alu instid0(SALU_CYCLE_1)
	s_mov_b32 s1, exec_lo
	s_wait_dscnt 0x0
	s_barrier_signal -1
	s_barrier_wait -1
	v_cmpx_gt_u32_e32 16, v0
	s_cbranch_execz .LBB17_15
; %bb.14:
	ds_load_2addr_b32 v[2:3], v1 offset1:16
	s_wait_dscnt 0x0
	v_add_f32_e32 v2, v2, v3
	ds_store_b32 v1, v2
.LBB17_15:
	;; [unrolled: 14-line block ×5, first 2 shown]
	s_or_b32 exec_lo, exec_lo, s1
	v_cmp_eq_u32_e32 vcc_lo, 0, v0
	s_wait_dscnt 0x0
	s_barrier_signal -1
	s_barrier_wait -1
	s_and_saveexec_b32 s1, vcc_lo
	s_cbranch_execz .LBB17_23
; %bb.22:
	v_mov_b32_e32 v2, 0
	ds_load_b64 v[0:1], v2
	s_wait_dscnt 0x0
	v_add_f32_e32 v0, v0, v1
	ds_store_b32 v2, v0
.LBB17_23:
	s_or_b32 exec_lo, exec_lo, s1
	s_wait_dscnt 0x0
	s_barrier_signal -1
	s_barrier_wait -1
	s_and_saveexec_b32 s1, vcc_lo
	s_cbranch_execz .LBB17_25
; %bb.24:
	v_dual_mov_b32 v0, 0 :: v_dual_mov_b32 v1, s0
	ds_load_b32 v0, v0
	s_wait_dscnt 0x0
	global_store_b32 v1, v0, s[10:11] scale_offset
.LBB17_25:
	s_endpgm
	.section	.rodata,"a",@progbits
	.p2align	6, 0x0
	.amdhsa_kernel _ZN9rocsparseL17doti_kernel_part1ILj256ELj2Ei18rocsparse_bfloat16S1_fEEvT1_PKT2_PKS2_PKT3_PT4_21rocsparse_index_base_
		.amdhsa_group_segment_fixed_size 1024
		.amdhsa_private_segment_fixed_size 0
		.amdhsa_kernarg_size 304
		.amdhsa_user_sgpr_count 2
		.amdhsa_user_sgpr_dispatch_ptr 0
		.amdhsa_user_sgpr_queue_ptr 0
		.amdhsa_user_sgpr_kernarg_segment_ptr 1
		.amdhsa_user_sgpr_dispatch_id 0
		.amdhsa_user_sgpr_kernarg_preload_length 0
		.amdhsa_user_sgpr_kernarg_preload_offset 0
		.amdhsa_user_sgpr_private_segment_size 0
		.amdhsa_wavefront_size32 1
		.amdhsa_uses_dynamic_stack 0
		.amdhsa_enable_private_segment 0
		.amdhsa_system_sgpr_workgroup_id_x 1
		.amdhsa_system_sgpr_workgroup_id_y 0
		.amdhsa_system_sgpr_workgroup_id_z 0
		.amdhsa_system_sgpr_workgroup_info 0
		.amdhsa_system_vgpr_workitem_id 0
		.amdhsa_next_free_vgpr 9
		.amdhsa_next_free_sgpr 15
		.amdhsa_named_barrier_count 0
		.amdhsa_reserve_vcc 1
		.amdhsa_float_round_mode_32 0
		.amdhsa_float_round_mode_16_64 0
		.amdhsa_float_denorm_mode_32 3
		.amdhsa_float_denorm_mode_16_64 3
		.amdhsa_fp16_overflow 0
		.amdhsa_memory_ordered 1
		.amdhsa_forward_progress 1
		.amdhsa_inst_pref_size 8
		.amdhsa_round_robin_scheduling 0
		.amdhsa_exception_fp_ieee_invalid_op 0
		.amdhsa_exception_fp_denorm_src 0
		.amdhsa_exception_fp_ieee_div_zero 0
		.amdhsa_exception_fp_ieee_overflow 0
		.amdhsa_exception_fp_ieee_underflow 0
		.amdhsa_exception_fp_ieee_inexact 0
		.amdhsa_exception_int_div_zero 0
	.end_amdhsa_kernel
	.section	.text._ZN9rocsparseL17doti_kernel_part1ILj256ELj2Ei18rocsparse_bfloat16S1_fEEvT1_PKT2_PKS2_PKT3_PT4_21rocsparse_index_base_,"axG",@progbits,_ZN9rocsparseL17doti_kernel_part1ILj256ELj2Ei18rocsparse_bfloat16S1_fEEvT1_PKT2_PKS2_PKT3_PT4_21rocsparse_index_base_,comdat
.Lfunc_end17:
	.size	_ZN9rocsparseL17doti_kernel_part1ILj256ELj2Ei18rocsparse_bfloat16S1_fEEvT1_PKT2_PKS2_PKT3_PT4_21rocsparse_index_base_, .Lfunc_end17-_ZN9rocsparseL17doti_kernel_part1ILj256ELj2Ei18rocsparse_bfloat16S1_fEEvT1_PKT2_PKS2_PKT3_PT4_21rocsparse_index_base_
                                        ; -- End function
	.set _ZN9rocsparseL17doti_kernel_part1ILj256ELj2Ei18rocsparse_bfloat16S1_fEEvT1_PKT2_PKS2_PKT3_PT4_21rocsparse_index_base_.num_vgpr, 9
	.set _ZN9rocsparseL17doti_kernel_part1ILj256ELj2Ei18rocsparse_bfloat16S1_fEEvT1_PKT2_PKS2_PKT3_PT4_21rocsparse_index_base_.num_agpr, 0
	.set _ZN9rocsparseL17doti_kernel_part1ILj256ELj2Ei18rocsparse_bfloat16S1_fEEvT1_PKT2_PKS2_PKT3_PT4_21rocsparse_index_base_.numbered_sgpr, 15
	.set _ZN9rocsparseL17doti_kernel_part1ILj256ELj2Ei18rocsparse_bfloat16S1_fEEvT1_PKT2_PKS2_PKT3_PT4_21rocsparse_index_base_.num_named_barrier, 0
	.set _ZN9rocsparseL17doti_kernel_part1ILj256ELj2Ei18rocsparse_bfloat16S1_fEEvT1_PKT2_PKS2_PKT3_PT4_21rocsparse_index_base_.private_seg_size, 0
	.set _ZN9rocsparseL17doti_kernel_part1ILj256ELj2Ei18rocsparse_bfloat16S1_fEEvT1_PKT2_PKS2_PKT3_PT4_21rocsparse_index_base_.uses_vcc, 1
	.set _ZN9rocsparseL17doti_kernel_part1ILj256ELj2Ei18rocsparse_bfloat16S1_fEEvT1_PKT2_PKS2_PKT3_PT4_21rocsparse_index_base_.uses_flat_scratch, 0
	.set _ZN9rocsparseL17doti_kernel_part1ILj256ELj2Ei18rocsparse_bfloat16S1_fEEvT1_PKT2_PKS2_PKT3_PT4_21rocsparse_index_base_.has_dyn_sized_stack, 0
	.set _ZN9rocsparseL17doti_kernel_part1ILj256ELj2Ei18rocsparse_bfloat16S1_fEEvT1_PKT2_PKS2_PKT3_PT4_21rocsparse_index_base_.has_recursion, 0
	.set _ZN9rocsparseL17doti_kernel_part1ILj256ELj2Ei18rocsparse_bfloat16S1_fEEvT1_PKT2_PKS2_PKT3_PT4_21rocsparse_index_base_.has_indirect_call, 0
	.section	.AMDGPU.csdata,"",@progbits
; Kernel info:
; codeLenInByte = 944
; TotalNumSgprs: 17
; NumVgprs: 9
; ScratchSize: 0
; MemoryBound: 0
; FloatMode: 240
; IeeeMode: 1
; LDSByteSize: 1024 bytes/workgroup (compile time only)
; SGPRBlocks: 0
; VGPRBlocks: 0
; NumSGPRsForWavesPerEU: 17
; NumVGPRsForWavesPerEU: 9
; NamedBarCnt: 0
; Occupancy: 16
; WaveLimiterHint : 1
; COMPUTE_PGM_RSRC2:SCRATCH_EN: 0
; COMPUTE_PGM_RSRC2:USER_SGPR: 2
; COMPUTE_PGM_RSRC2:TRAP_HANDLER: 0
; COMPUTE_PGM_RSRC2:TGID_X_EN: 1
; COMPUTE_PGM_RSRC2:TGID_Y_EN: 0
; COMPUTE_PGM_RSRC2:TGID_Z_EN: 0
; COMPUTE_PGM_RSRC2:TIDIG_COMP_CNT: 0
	.section	.text._ZN9rocsparseL17doti_kernel_part1ILj256ELj2El18rocsparse_bfloat16S1_fEEvT1_PKT2_PKS2_PKT3_PT4_21rocsparse_index_base_,"axG",@progbits,_ZN9rocsparseL17doti_kernel_part1ILj256ELj2El18rocsparse_bfloat16S1_fEEvT1_PKT2_PKS2_PKT3_PT4_21rocsparse_index_base_,comdat
	.globl	_ZN9rocsparseL17doti_kernel_part1ILj256ELj2El18rocsparse_bfloat16S1_fEEvT1_PKT2_PKS2_PKT3_PT4_21rocsparse_index_base_ ; -- Begin function _ZN9rocsparseL17doti_kernel_part1ILj256ELj2El18rocsparse_bfloat16S1_fEEvT1_PKT2_PKS2_PKT3_PT4_21rocsparse_index_base_
	.p2align	8
	.type	_ZN9rocsparseL17doti_kernel_part1ILj256ELj2El18rocsparse_bfloat16S1_fEEvT1_PKT2_PKS2_PKT3_PT4_21rocsparse_index_base_,@function
_ZN9rocsparseL17doti_kernel_part1ILj256ELj2El18rocsparse_bfloat16S1_fEEvT1_PKT2_PKS2_PKT3_PT4_21rocsparse_index_base_: ; @_ZN9rocsparseL17doti_kernel_part1ILj256ELj2El18rocsparse_bfloat16S1_fEEvT1_PKT2_PKS2_PKT3_PT4_21rocsparse_index_base_
; %bb.0:
	s_clause 0x2
	s_load_b32 s21, s[0:1], 0x30
	s_load_b256 s[4:11], s[0:1], 0x0
	s_load_b96 s[12:14], s[0:1], 0x20
	s_wait_xcnt 0x0
	s_bfe_u32 s0, ttmp6, 0x4000c
	s_and_b32 s1, ttmp6, 15
	s_add_co_i32 s0, s0, 1
	s_getreg_b32 s2, hwreg(HW_REG_IB_STS2, 6, 4)
	s_mul_i32 s0, ttmp9, s0
	s_mov_b32 s3, 0
	s_add_co_i32 s1, s1, s0
	s_cmp_eq_u32 s2, 0
	v_mov_b32_e32 v5, 0
	s_cselect_b32 s20, ttmp9, s1
	s_delay_alu instid0(SALU_CYCLE_1) | instskip(NEXT) | instid1(SALU_CYCLE_1)
	s_lshl_b32 s1, s20, 8
	v_or_b32_e32 v4, s1, v0
	s_wait_kmcnt 0x0
	s_lshl_b32 s2, s21, 9
	s_delay_alu instid0(SALU_CYCLE_1)
	v_cmp_le_i64_e64 s0, s[4:5], s[2:3]
	s_and_b32 vcc_lo, exec_lo, s0
	s_mov_b32 s0, s14
	s_cbranch_vccnz .LBB18_3
; %bb.1:
	v_dual_mov_b32 v3, 0 :: v_dual_add_nc_u32 v2, s1, v4
	s_mov_b32 s1, s3
	s_lshl_b64 s[16:17], s[2:3], 1
	s_lshl_b64 s[18:19], s[2:3], 3
	s_mov_b64 s[14:15], s[2:3]
	v_lshl_add_u64 v[6:7], v[2:3], 1, s[6:7]
	v_lshl_add_u64 v[8:9], v[2:3], 3, s[8:9]
	s_delay_alu instid0(VALU_DEP_2) | instskip(NEXT) | instid1(VALU_DEP_2)
	v_add_nc_u64_e32 v[6:7], 0x200, v[6:7]
	v_add_nc_u64_e32 v[8:9], 0x800, v[8:9]
.LBB18_2:                               ; =>This Inner Loop Header: Depth=1
	s_clause 0x1
	global_load_b64 v[10:11], v[8:9], off offset:-2048
	global_load_b64 v[12:13], v[8:9], off
	global_load_u16 v1, v[6:7], off offset:-512
	s_add_nc_u64 s[14:15], s[14:15], s[2:3]
	s_wait_xcnt 0x1
	v_add_nc_u64_e32 v[8:9], s[18:19], v[8:9]
	v_cmp_lt_i64_e64 s22, s[14:15], s[4:5]
	s_and_b32 vcc_lo, exec_lo, s22
	s_wait_loadcnt 0x2
	v_sub_nc_u64_e64 v[10:11], v[10:11], s[0:1]
	s_wait_loadcnt 0x1
	v_sub_nc_u64_e64 v[12:13], v[12:13], s[0:1]
	s_delay_alu instid0(VALU_DEP_2) | instskip(NEXT) | instid1(VALU_DEP_2)
	v_lshl_add_u64 v[10:11], v[10:11], 1, s[10:11]
	v_lshl_add_u64 v[12:13], v[12:13], 1, s[10:11]
	global_load_u16 v2, v[10:11], off
	global_load_u16 v14, v[6:7], off
	;; [unrolled: 1-line block ×3, first 2 shown]
	s_wait_xcnt 0x1
	v_add_nc_u64_e32 v[6:7], s[16:17], v[6:7]
	s_wait_loadcnt 0x2
	v_fma_mix_f32_bf16 v1, v2, v1, v3 op_sel_hi:[1,1,0]
	s_wait_loadcnt 0x0
	s_delay_alu instid0(VALU_DEP_1)
	v_fma_mix_f32_bf16 v3, v15, v14, v1 op_sel_hi:[1,1,0]
	s_cbranch_vccnz .LBB18_2
	s_branch .LBB18_4
.LBB18_3:
	v_mov_b32_e32 v3, v5
	s_mov_b64 s[14:15], s[2:3]
.LBB18_4:
	v_sub_nc_u64_e64 v[4:5], v[4:5], s[2:3]
	s_delay_alu instid0(VALU_DEP_1) | instskip(SKIP_1) | instid1(VALU_DEP_1)
	v_add_nc_u64_e32 v[4:5], s[14:15], v[4:5]
	s_mov_b32 s14, exec_lo
	v_cmpx_gt_i64_e64 s[4:5], v[4:5]
	s_cbranch_execz .LBB18_8
; %bb.5:
	s_mov_b32 s1, 0
	v_lshl_add_u64 v[6:7], v[4:5], 1, s[6:7]
	v_lshl_add_u64 v[8:9], v[4:5], 3, s[8:9]
	s_lshl_b32 s2, s21, 8
	s_mov_b32 s3, s1
	s_mov_b32 s15, s1
	s_lshl_b64 s[6:7], s[2:3], 1
	s_lshl_b64 s[8:9], s[2:3], 3
.LBB18_6:                               ; =>This Inner Loop Header: Depth=1
	global_load_b64 v[10:11], v[8:9], off
	v_add_nc_u64_e32 v[4:5], s[2:3], v[4:5]
	s_wait_xcnt 0x0
	v_add_nc_u64_e32 v[8:9], s[8:9], v[8:9]
	s_delay_alu instid0(VALU_DEP_2) | instskip(SKIP_3) | instid1(VALU_DEP_1)
	v_cmp_le_i64_e32 vcc_lo, s[4:5], v[4:5]
	s_or_b32 s15, vcc_lo, s15
	s_wait_loadcnt 0x0
	v_sub_nc_u64_e64 v[10:11], v[10:11], s[0:1]
	v_lshl_add_u64 v[10:11], v[10:11], 1, s[10:11]
	global_load_u16 v1, v[6:7], off
	global_load_u16 v2, v[10:11], off
	s_wait_xcnt 0x1
	v_add_nc_u64_e32 v[6:7], s[6:7], v[6:7]
	s_wait_loadcnt 0x0
	v_fma_mix_f32_bf16 v3, v2, v1, v3 op_sel_hi:[1,1,0]
	s_and_not1_b32 exec_lo, exec_lo, s15
	s_cbranch_execnz .LBB18_6
; %bb.7:
	s_or_b32 exec_lo, exec_lo, s15
.LBB18_8:
	s_delay_alu instid0(SALU_CYCLE_1)
	s_or_b32 exec_lo, exec_lo, s14
	v_lshlrev_b32_e32 v1, 2, v0
	s_mov_b32 s0, exec_lo
	ds_store_b32 v1, v3
	s_wait_dscnt 0x0
	s_barrier_signal -1
	s_barrier_wait -1
	v_cmpx_gt_u32_e32 0x80, v0
	s_cbranch_execz .LBB18_10
; %bb.9:
	ds_load_2addr_stride64_b32 v[2:3], v1 offset1:2
	s_wait_dscnt 0x0
	v_add_f32_e32 v2, v2, v3
	ds_store_b32 v1, v2
.LBB18_10:
	s_or_b32 exec_lo, exec_lo, s0
	s_delay_alu instid0(SALU_CYCLE_1)
	s_mov_b32 s0, exec_lo
	s_wait_dscnt 0x0
	s_barrier_signal -1
	s_barrier_wait -1
	v_cmpx_gt_u32_e32 64, v0
	s_cbranch_execz .LBB18_12
; %bb.11:
	ds_load_2addr_stride64_b32 v[2:3], v1 offset1:1
	s_wait_dscnt 0x0
	v_add_f32_e32 v2, v2, v3
	ds_store_b32 v1, v2
.LBB18_12:
	s_or_b32 exec_lo, exec_lo, s0
	s_delay_alu instid0(SALU_CYCLE_1)
	s_mov_b32 s0, exec_lo
	s_wait_dscnt 0x0
	s_barrier_signal -1
	s_barrier_wait -1
	v_cmpx_gt_u32_e32 32, v0
	s_cbranch_execz .LBB18_14
; %bb.13:
	ds_load_2addr_b32 v[2:3], v1 offset1:32
	s_wait_dscnt 0x0
	v_add_f32_e32 v2, v2, v3
	ds_store_b32 v1, v2
.LBB18_14:
	s_or_b32 exec_lo, exec_lo, s0
	s_delay_alu instid0(SALU_CYCLE_1)
	s_mov_b32 s0, exec_lo
	s_wait_dscnt 0x0
	s_barrier_signal -1
	s_barrier_wait -1
	v_cmpx_gt_u32_e32 16, v0
	s_cbranch_execz .LBB18_16
; %bb.15:
	ds_load_2addr_b32 v[2:3], v1 offset1:16
	s_wait_dscnt 0x0
	v_add_f32_e32 v2, v2, v3
	ds_store_b32 v1, v2
.LBB18_16:
	;; [unrolled: 14-line block ×5, first 2 shown]
	s_or_b32 exec_lo, exec_lo, s0
	v_cmp_eq_u32_e32 vcc_lo, 0, v0
	s_wait_dscnt 0x0
	s_barrier_signal -1
	s_barrier_wait -1
	s_and_saveexec_b32 s0, vcc_lo
	s_cbranch_execz .LBB18_24
; %bb.23:
	v_mov_b32_e32 v2, 0
	ds_load_b64 v[0:1], v2
	s_wait_dscnt 0x0
	v_add_f32_e32 v0, v0, v1
	ds_store_b32 v2, v0
.LBB18_24:
	s_or_b32 exec_lo, exec_lo, s0
	s_wait_dscnt 0x0
	s_barrier_signal -1
	s_barrier_wait -1
	s_and_saveexec_b32 s0, vcc_lo
	s_cbranch_execz .LBB18_26
; %bb.25:
	v_dual_mov_b32 v0, 0 :: v_dual_mov_b32 v1, s20
	ds_load_b32 v0, v0
	s_wait_dscnt 0x0
	global_store_b32 v1, v0, s[12:13] scale_offset
.LBB18_26:
	s_endpgm
	.section	.rodata,"a",@progbits
	.p2align	6, 0x0
	.amdhsa_kernel _ZN9rocsparseL17doti_kernel_part1ILj256ELj2El18rocsparse_bfloat16S1_fEEvT1_PKT2_PKS2_PKT3_PT4_21rocsparse_index_base_
		.amdhsa_group_segment_fixed_size 1024
		.amdhsa_private_segment_fixed_size 0
		.amdhsa_kernarg_size 304
		.amdhsa_user_sgpr_count 2
		.amdhsa_user_sgpr_dispatch_ptr 0
		.amdhsa_user_sgpr_queue_ptr 0
		.amdhsa_user_sgpr_kernarg_segment_ptr 1
		.amdhsa_user_sgpr_dispatch_id 0
		.amdhsa_user_sgpr_kernarg_preload_length 0
		.amdhsa_user_sgpr_kernarg_preload_offset 0
		.amdhsa_user_sgpr_private_segment_size 0
		.amdhsa_wavefront_size32 1
		.amdhsa_uses_dynamic_stack 0
		.amdhsa_enable_private_segment 0
		.amdhsa_system_sgpr_workgroup_id_x 1
		.amdhsa_system_sgpr_workgroup_id_y 0
		.amdhsa_system_sgpr_workgroup_id_z 0
		.amdhsa_system_sgpr_workgroup_info 0
		.amdhsa_system_vgpr_workitem_id 0
		.amdhsa_next_free_vgpr 16
		.amdhsa_next_free_sgpr 23
		.amdhsa_named_barrier_count 0
		.amdhsa_reserve_vcc 1
		.amdhsa_float_round_mode_32 0
		.amdhsa_float_round_mode_16_64 0
		.amdhsa_float_denorm_mode_32 3
		.amdhsa_float_denorm_mode_16_64 3
		.amdhsa_fp16_overflow 0
		.amdhsa_memory_ordered 1
		.amdhsa_forward_progress 1
		.amdhsa_inst_pref_size 9
		.amdhsa_round_robin_scheduling 0
		.amdhsa_exception_fp_ieee_invalid_op 0
		.amdhsa_exception_fp_denorm_src 0
		.amdhsa_exception_fp_ieee_div_zero 0
		.amdhsa_exception_fp_ieee_overflow 0
		.amdhsa_exception_fp_ieee_underflow 0
		.amdhsa_exception_fp_ieee_inexact 0
		.amdhsa_exception_int_div_zero 0
	.end_amdhsa_kernel
	.section	.text._ZN9rocsparseL17doti_kernel_part1ILj256ELj2El18rocsparse_bfloat16S1_fEEvT1_PKT2_PKS2_PKT3_PT4_21rocsparse_index_base_,"axG",@progbits,_ZN9rocsparseL17doti_kernel_part1ILj256ELj2El18rocsparse_bfloat16S1_fEEvT1_PKT2_PKS2_PKT3_PT4_21rocsparse_index_base_,comdat
.Lfunc_end18:
	.size	_ZN9rocsparseL17doti_kernel_part1ILj256ELj2El18rocsparse_bfloat16S1_fEEvT1_PKT2_PKS2_PKT3_PT4_21rocsparse_index_base_, .Lfunc_end18-_ZN9rocsparseL17doti_kernel_part1ILj256ELj2El18rocsparse_bfloat16S1_fEEvT1_PKT2_PKS2_PKT3_PT4_21rocsparse_index_base_
                                        ; -- End function
	.set _ZN9rocsparseL17doti_kernel_part1ILj256ELj2El18rocsparse_bfloat16S1_fEEvT1_PKT2_PKS2_PKT3_PT4_21rocsparse_index_base_.num_vgpr, 16
	.set _ZN9rocsparseL17doti_kernel_part1ILj256ELj2El18rocsparse_bfloat16S1_fEEvT1_PKT2_PKS2_PKT3_PT4_21rocsparse_index_base_.num_agpr, 0
	.set _ZN9rocsparseL17doti_kernel_part1ILj256ELj2El18rocsparse_bfloat16S1_fEEvT1_PKT2_PKS2_PKT3_PT4_21rocsparse_index_base_.numbered_sgpr, 23
	.set _ZN9rocsparseL17doti_kernel_part1ILj256ELj2El18rocsparse_bfloat16S1_fEEvT1_PKT2_PKS2_PKT3_PT4_21rocsparse_index_base_.num_named_barrier, 0
	.set _ZN9rocsparseL17doti_kernel_part1ILj256ELj2El18rocsparse_bfloat16S1_fEEvT1_PKT2_PKS2_PKT3_PT4_21rocsparse_index_base_.private_seg_size, 0
	.set _ZN9rocsparseL17doti_kernel_part1ILj256ELj2El18rocsparse_bfloat16S1_fEEvT1_PKT2_PKS2_PKT3_PT4_21rocsparse_index_base_.uses_vcc, 1
	.set _ZN9rocsparseL17doti_kernel_part1ILj256ELj2El18rocsparse_bfloat16S1_fEEvT1_PKT2_PKS2_PKT3_PT4_21rocsparse_index_base_.uses_flat_scratch, 0
	.set _ZN9rocsparseL17doti_kernel_part1ILj256ELj2El18rocsparse_bfloat16S1_fEEvT1_PKT2_PKS2_PKT3_PT4_21rocsparse_index_base_.has_dyn_sized_stack, 0
	.set _ZN9rocsparseL17doti_kernel_part1ILj256ELj2El18rocsparse_bfloat16S1_fEEvT1_PKT2_PKS2_PKT3_PT4_21rocsparse_index_base_.has_recursion, 0
	.set _ZN9rocsparseL17doti_kernel_part1ILj256ELj2El18rocsparse_bfloat16S1_fEEvT1_PKT2_PKS2_PKT3_PT4_21rocsparse_index_base_.has_indirect_call, 0
	.section	.AMDGPU.csdata,"",@progbits
; Kernel info:
; codeLenInByte = 1084
; TotalNumSgprs: 25
; NumVgprs: 16
; ScratchSize: 0
; MemoryBound: 0
; FloatMode: 240
; IeeeMode: 1
; LDSByteSize: 1024 bytes/workgroup (compile time only)
; SGPRBlocks: 0
; VGPRBlocks: 0
; NumSGPRsForWavesPerEU: 25
; NumVGPRsForWavesPerEU: 16
; NamedBarCnt: 0
; Occupancy: 16
; WaveLimiterHint : 1
; COMPUTE_PGM_RSRC2:SCRATCH_EN: 0
; COMPUTE_PGM_RSRC2:USER_SGPR: 2
; COMPUTE_PGM_RSRC2:TRAP_HANDLER: 0
; COMPUTE_PGM_RSRC2:TGID_X_EN: 1
; COMPUTE_PGM_RSRC2:TGID_Y_EN: 0
; COMPUTE_PGM_RSRC2:TGID_Z_EN: 0
; COMPUTE_PGM_RSRC2:TIDIG_COMP_CNT: 0
	.section	.text._ZN9rocsparseL17doti_kernel_part1ILj256ELj2EiaafEEvT1_PKT2_PKS1_PKT3_PT4_21rocsparse_index_base_,"axG",@progbits,_ZN9rocsparseL17doti_kernel_part1ILj256ELj2EiaafEEvT1_PKT2_PKS1_PKT3_PT4_21rocsparse_index_base_,comdat
	.globl	_ZN9rocsparseL17doti_kernel_part1ILj256ELj2EiaafEEvT1_PKT2_PKS1_PKT3_PT4_21rocsparse_index_base_ ; -- Begin function _ZN9rocsparseL17doti_kernel_part1ILj256ELj2EiaafEEvT1_PKT2_PKS1_PKT3_PT4_21rocsparse_index_base_
	.p2align	8
	.type	_ZN9rocsparseL17doti_kernel_part1ILj256ELj2EiaafEEvT1_PKT2_PKS1_PKT3_PT4_21rocsparse_index_base_,@function
_ZN9rocsparseL17doti_kernel_part1ILj256ELj2EiaafEEvT1_PKT2_PKS1_PKT3_PT4_21rocsparse_index_base_: ; @_ZN9rocsparseL17doti_kernel_part1ILj256ELj2EiaafEEvT1_PKT2_PKS1_PKT3_PT4_21rocsparse_index_base_
; %bb.0:
	s_clause 0x3
	s_load_b32 s12, s[0:1], 0x30
	s_load_b32 s2, s[0:1], 0x0
	;; [unrolled: 1-line block ×3, first 2 shown]
	s_load_b256 s[4:11], s[0:1], 0x8
	s_wait_xcnt 0x0
	s_bfe_u32 s0, ttmp6, 0x4000c
	s_and_b32 s1, ttmp6, 15
	s_add_co_i32 s0, s0, 1
	s_getreg_b32 s13, hwreg(HW_REG_IB_STS2, 6, 4)
	s_mul_i32 s0, ttmp9, s0
	v_mov_b32_e32 v2, 0
	s_add_co_i32 s1, s1, s0
	s_cmp_eq_u32 s13, 0
	s_mov_b32 s13, 0
	s_cselect_b32 s0, ttmp9, s1
	s_wait_kmcnt 0x0
	s_lshl_b32 s1, s12, 9
	s_delay_alu instid0(SALU_CYCLE_1)
	s_cmp_ge_i32 s1, s2
	s_mov_b32 s14, s1
	s_cbranch_scc1 .LBB19_3
; %bb.1:
	v_lshl_or_b32 v1, s0, 9, v0
	v_mov_b32_e32 v2, 0
.LBB19_2:                               ; =>This Inner Loop Header: Depth=1
	s_delay_alu instid0(VALU_DEP_2) | instskip(SKIP_1) | instid1(SALU_CYCLE_1)
	v_add_nc_u32_e32 v3, s13, v1
	s_add_co_i32 s13, s13, s1
	s_add_co_i32 s14, s1, s13
	s_delay_alu instid0(SALU_CYCLE_1)
	s_cmp_lt_i32 s14, s2
	global_load_b32 v4, v3, s[6:7] scale_offset
	v_add_nc_u32_e32 v5, 0x100, v3
	global_load_b32 v6, v5, s[6:7] scale_offset
	global_load_i8 v7, v3, s[4:5]
	s_wait_loadcnt 0x2
	s_wait_xcnt 0x0
	v_subrev_nc_u32_e32 v3, s3, v4
	global_load_i8 v4, v5, s[4:5]
	global_load_i8 v8, v3, s[8:9]
	s_wait_loadcnt 0x3
	s_wait_xcnt 0x0
	v_subrev_nc_u32_e32 v3, s3, v6
	s_wait_loadcnt 0x2
	v_cvt_f32_i32_e32 v5, v7
	global_load_i8 v3, v3, s[8:9]
	s_wait_loadcnt 0x2
	v_cvt_f32_i32_e32 v4, v4
	s_wait_loadcnt 0x1
	v_cvt_f32_i32_e32 v6, v8
	s_delay_alu instid0(VALU_DEP_1) | instskip(SKIP_2) | instid1(VALU_DEP_1)
	v_fmac_f32_e32 v2, v6, v5
	s_wait_loadcnt 0x0
	v_cvt_f32_i32_e32 v3, v3
	v_fmac_f32_e32 v2, v3, v4
	s_cbranch_scc1 .LBB19_2
.LBB19_3:
	v_lshl_or_b32 v1, s0, 8, v0
	s_delay_alu instid0(VALU_DEP_1) | instskip(SKIP_1) | instid1(VALU_DEP_1)
	v_subrev_nc_u32_e32 v1, s1, v1
	s_mov_b32 s1, exec_lo
	v_add_nc_u32_e32 v1, s14, v1
	s_delay_alu instid0(VALU_DEP_1)
	v_cmpx_gt_i32_e64 s2, v1
	s_cbranch_execz .LBB19_7
; %bb.4:
	s_lshl_b32 s13, s12, 8
	s_mov_b32 s12, 0
.LBB19_5:                               ; =>This Inner Loop Header: Depth=1
	s_clause 0x1
	global_load_b32 v3, v1, s[6:7] scale_offset
	global_load_i8 v4, v1, s[4:5]
	s_wait_loadcnt 0x1
	v_subrev_nc_u32_e32 v3, s3, v3
	s_wait_loadcnt 0x0
	v_cvt_f32_i32_e32 v4, v4
	global_load_i8 v3, v3, s[8:9]
	s_wait_loadcnt 0x0
	v_cvt_f32_i32_e32 v3, v3
	s_delay_alu instid0(VALU_DEP_1) | instskip(NEXT) | instid1(VALU_DEP_1)
	v_dual_fmac_f32 v2, v3, v4 :: v_dual_add_nc_u32 v1, s13, v1
	v_cmp_le_i32_e32 vcc_lo, s2, v1
	s_or_b32 s12, vcc_lo, s12
	s_delay_alu instid0(SALU_CYCLE_1)
	s_and_not1_b32 exec_lo, exec_lo, s12
	s_cbranch_execnz .LBB19_5
; %bb.6:
	s_or_b32 exec_lo, exec_lo, s12
.LBB19_7:
	s_delay_alu instid0(SALU_CYCLE_1)
	s_or_b32 exec_lo, exec_lo, s1
	v_lshlrev_b32_e32 v1, 2, v0
	s_mov_b32 s1, exec_lo
	ds_store_b32 v1, v2
	s_wait_dscnt 0x0
	s_barrier_signal -1
	s_barrier_wait -1
	v_cmpx_gt_u32_e32 0x80, v0
	s_cbranch_execz .LBB19_9
; %bb.8:
	ds_load_2addr_stride64_b32 v[2:3], v1 offset1:2
	s_wait_dscnt 0x0
	v_add_f32_e32 v2, v2, v3
	ds_store_b32 v1, v2
.LBB19_9:
	s_or_b32 exec_lo, exec_lo, s1
	s_delay_alu instid0(SALU_CYCLE_1)
	s_mov_b32 s1, exec_lo
	s_wait_dscnt 0x0
	s_barrier_signal -1
	s_barrier_wait -1
	v_cmpx_gt_u32_e32 64, v0
	s_cbranch_execz .LBB19_11
; %bb.10:
	ds_load_2addr_stride64_b32 v[2:3], v1 offset1:1
	s_wait_dscnt 0x0
	v_add_f32_e32 v2, v2, v3
	ds_store_b32 v1, v2
.LBB19_11:
	s_or_b32 exec_lo, exec_lo, s1
	s_delay_alu instid0(SALU_CYCLE_1)
	s_mov_b32 s1, exec_lo
	s_wait_dscnt 0x0
	s_barrier_signal -1
	s_barrier_wait -1
	v_cmpx_gt_u32_e32 32, v0
	s_cbranch_execz .LBB19_13
; %bb.12:
	ds_load_2addr_b32 v[2:3], v1 offset1:32
	s_wait_dscnt 0x0
	v_add_f32_e32 v2, v2, v3
	ds_store_b32 v1, v2
.LBB19_13:
	s_or_b32 exec_lo, exec_lo, s1
	s_delay_alu instid0(SALU_CYCLE_1)
	s_mov_b32 s1, exec_lo
	s_wait_dscnt 0x0
	s_barrier_signal -1
	s_barrier_wait -1
	v_cmpx_gt_u32_e32 16, v0
	s_cbranch_execz .LBB19_15
; %bb.14:
	ds_load_2addr_b32 v[2:3], v1 offset1:16
	s_wait_dscnt 0x0
	v_add_f32_e32 v2, v2, v3
	ds_store_b32 v1, v2
.LBB19_15:
	;; [unrolled: 14-line block ×5, first 2 shown]
	s_or_b32 exec_lo, exec_lo, s1
	v_cmp_eq_u32_e32 vcc_lo, 0, v0
	s_wait_dscnt 0x0
	s_barrier_signal -1
	s_barrier_wait -1
	s_and_saveexec_b32 s1, vcc_lo
	s_cbranch_execz .LBB19_23
; %bb.22:
	v_mov_b32_e32 v2, 0
	ds_load_b64 v[0:1], v2
	s_wait_dscnt 0x0
	v_add_f32_e32 v0, v0, v1
	ds_store_b32 v2, v0
.LBB19_23:
	s_or_b32 exec_lo, exec_lo, s1
	s_wait_dscnt 0x0
	s_barrier_signal -1
	s_barrier_wait -1
	s_and_saveexec_b32 s1, vcc_lo
	s_cbranch_execz .LBB19_25
; %bb.24:
	v_dual_mov_b32 v0, 0 :: v_dual_mov_b32 v1, s0
	ds_load_b32 v0, v0
	s_wait_dscnt 0x0
	global_store_b32 v1, v0, s[10:11] scale_offset
.LBB19_25:
	s_endpgm
	.section	.rodata,"a",@progbits
	.p2align	6, 0x0
	.amdhsa_kernel _ZN9rocsparseL17doti_kernel_part1ILj256ELj2EiaafEEvT1_PKT2_PKS1_PKT3_PT4_21rocsparse_index_base_
		.amdhsa_group_segment_fixed_size 1024
		.amdhsa_private_segment_fixed_size 0
		.amdhsa_kernarg_size 304
		.amdhsa_user_sgpr_count 2
		.amdhsa_user_sgpr_dispatch_ptr 0
		.amdhsa_user_sgpr_queue_ptr 0
		.amdhsa_user_sgpr_kernarg_segment_ptr 1
		.amdhsa_user_sgpr_dispatch_id 0
		.amdhsa_user_sgpr_kernarg_preload_length 0
		.amdhsa_user_sgpr_kernarg_preload_offset 0
		.amdhsa_user_sgpr_private_segment_size 0
		.amdhsa_wavefront_size32 1
		.amdhsa_uses_dynamic_stack 0
		.amdhsa_enable_private_segment 0
		.amdhsa_system_sgpr_workgroup_id_x 1
		.amdhsa_system_sgpr_workgroup_id_y 0
		.amdhsa_system_sgpr_workgroup_id_z 0
		.amdhsa_system_sgpr_workgroup_info 0
		.amdhsa_system_vgpr_workitem_id 0
		.amdhsa_next_free_vgpr 9
		.amdhsa_next_free_sgpr 15
		.amdhsa_named_barrier_count 0
		.amdhsa_reserve_vcc 1
		.amdhsa_float_round_mode_32 0
		.amdhsa_float_round_mode_16_64 0
		.amdhsa_float_denorm_mode_32 3
		.amdhsa_float_denorm_mode_16_64 3
		.amdhsa_fp16_overflow 0
		.amdhsa_memory_ordered 1
		.amdhsa_forward_progress 1
		.amdhsa_inst_pref_size 8
		.amdhsa_round_robin_scheduling 0
		.amdhsa_exception_fp_ieee_invalid_op 0
		.amdhsa_exception_fp_denorm_src 0
		.amdhsa_exception_fp_ieee_div_zero 0
		.amdhsa_exception_fp_ieee_overflow 0
		.amdhsa_exception_fp_ieee_underflow 0
		.amdhsa_exception_fp_ieee_inexact 0
		.amdhsa_exception_int_div_zero 0
	.end_amdhsa_kernel
	.section	.text._ZN9rocsparseL17doti_kernel_part1ILj256ELj2EiaafEEvT1_PKT2_PKS1_PKT3_PT4_21rocsparse_index_base_,"axG",@progbits,_ZN9rocsparseL17doti_kernel_part1ILj256ELj2EiaafEEvT1_PKT2_PKS1_PKT3_PT4_21rocsparse_index_base_,comdat
.Lfunc_end19:
	.size	_ZN9rocsparseL17doti_kernel_part1ILj256ELj2EiaafEEvT1_PKT2_PKS1_PKT3_PT4_21rocsparse_index_base_, .Lfunc_end19-_ZN9rocsparseL17doti_kernel_part1ILj256ELj2EiaafEEvT1_PKT2_PKS1_PKT3_PT4_21rocsparse_index_base_
                                        ; -- End function
	.set _ZN9rocsparseL17doti_kernel_part1ILj256ELj2EiaafEEvT1_PKT2_PKS1_PKT3_PT4_21rocsparse_index_base_.num_vgpr, 9
	.set _ZN9rocsparseL17doti_kernel_part1ILj256ELj2EiaafEEvT1_PKT2_PKS1_PKT3_PT4_21rocsparse_index_base_.num_agpr, 0
	.set _ZN9rocsparseL17doti_kernel_part1ILj256ELj2EiaafEEvT1_PKT2_PKS1_PKT3_PT4_21rocsparse_index_base_.numbered_sgpr, 15
	.set _ZN9rocsparseL17doti_kernel_part1ILj256ELj2EiaafEEvT1_PKT2_PKS1_PKT3_PT4_21rocsparse_index_base_.num_named_barrier, 0
	.set _ZN9rocsparseL17doti_kernel_part1ILj256ELj2EiaafEEvT1_PKT2_PKS1_PKT3_PT4_21rocsparse_index_base_.private_seg_size, 0
	.set _ZN9rocsparseL17doti_kernel_part1ILj256ELj2EiaafEEvT1_PKT2_PKS1_PKT3_PT4_21rocsparse_index_base_.uses_vcc, 1
	.set _ZN9rocsparseL17doti_kernel_part1ILj256ELj2EiaafEEvT1_PKT2_PKS1_PKT3_PT4_21rocsparse_index_base_.uses_flat_scratch, 0
	.set _ZN9rocsparseL17doti_kernel_part1ILj256ELj2EiaafEEvT1_PKT2_PKS1_PKT3_PT4_21rocsparse_index_base_.has_dyn_sized_stack, 0
	.set _ZN9rocsparseL17doti_kernel_part1ILj256ELj2EiaafEEvT1_PKT2_PKS1_PKT3_PT4_21rocsparse_index_base_.has_recursion, 0
	.set _ZN9rocsparseL17doti_kernel_part1ILj256ELj2EiaafEEvT1_PKT2_PKS1_PKT3_PT4_21rocsparse_index_base_.has_indirect_call, 0
	.section	.AMDGPU.csdata,"",@progbits
; Kernel info:
; codeLenInByte = 968
; TotalNumSgprs: 17
; NumVgprs: 9
; ScratchSize: 0
; MemoryBound: 0
; FloatMode: 240
; IeeeMode: 1
; LDSByteSize: 1024 bytes/workgroup (compile time only)
; SGPRBlocks: 0
; VGPRBlocks: 0
; NumSGPRsForWavesPerEU: 17
; NumVGPRsForWavesPerEU: 9
; NamedBarCnt: 0
; Occupancy: 16
; WaveLimiterHint : 1
; COMPUTE_PGM_RSRC2:SCRATCH_EN: 0
; COMPUTE_PGM_RSRC2:USER_SGPR: 2
; COMPUTE_PGM_RSRC2:TRAP_HANDLER: 0
; COMPUTE_PGM_RSRC2:TGID_X_EN: 1
; COMPUTE_PGM_RSRC2:TGID_Y_EN: 0
; COMPUTE_PGM_RSRC2:TGID_Z_EN: 0
; COMPUTE_PGM_RSRC2:TIDIG_COMP_CNT: 0
	.section	.text._ZN9rocsparseL17doti_kernel_part1ILj256ELj2ElaafEEvT1_PKT2_PKS1_PKT3_PT4_21rocsparse_index_base_,"axG",@progbits,_ZN9rocsparseL17doti_kernel_part1ILj256ELj2ElaafEEvT1_PKT2_PKS1_PKT3_PT4_21rocsparse_index_base_,comdat
	.globl	_ZN9rocsparseL17doti_kernel_part1ILj256ELj2ElaafEEvT1_PKT2_PKS1_PKT3_PT4_21rocsparse_index_base_ ; -- Begin function _ZN9rocsparseL17doti_kernel_part1ILj256ELj2ElaafEEvT1_PKT2_PKS1_PKT3_PT4_21rocsparse_index_base_
	.p2align	8
	.type	_ZN9rocsparseL17doti_kernel_part1ILj256ELj2ElaafEEvT1_PKT2_PKS1_PKT3_PT4_21rocsparse_index_base_,@function
_ZN9rocsparseL17doti_kernel_part1ILj256ELj2ElaafEEvT1_PKT2_PKS1_PKT3_PT4_21rocsparse_index_base_: ; @_ZN9rocsparseL17doti_kernel_part1ILj256ELj2ElaafEEvT1_PKT2_PKS1_PKT3_PT4_21rocsparse_index_base_
; %bb.0:
	s_clause 0x2
	s_load_b32 s21, s[0:1], 0x30
	s_load_b256 s[4:11], s[0:1], 0x0
	s_load_b96 s[12:14], s[0:1], 0x20
	s_wait_xcnt 0x0
	s_bfe_u32 s0, ttmp6, 0x4000c
	s_and_b32 s1, ttmp6, 15
	s_add_co_i32 s0, s0, 1
	s_getreg_b32 s2, hwreg(HW_REG_IB_STS2, 6, 4)
	s_mul_i32 s0, ttmp9, s0
	s_mov_b32 s3, 0
	s_add_co_i32 s1, s1, s0
	s_cmp_eq_u32 s2, 0
	s_cselect_b32 s20, ttmp9, s1
	s_delay_alu instid0(SALU_CYCLE_1) | instskip(NEXT) | instid1(SALU_CYCLE_1)
	s_lshl_b32 s1, s20, 8
	v_dual_mov_b32 v5, 0 :: v_dual_bitop2_b32 v4, s1, v0 bitop3:0x54
	s_delay_alu instid0(VALU_DEP_1)
	v_mov_b32_e32 v3, v5
	s_wait_kmcnt 0x0
	s_lshl_b32 s2, s21, 9
	s_mov_b32 s0, s14
	v_cmp_le_i64_e64 s15, s[4:5], s[2:3]
	s_mov_b64 s[18:19], s[2:3]
	s_and_b32 vcc_lo, exec_lo, s15
	s_cbranch_vccnz .LBB20_3
; %bb.1:
	v_dual_mov_b32 v3, 0 :: v_dual_add_nc_u32 v2, s1, v4
	s_mov_b32 s1, s3
	s_lshl_b64 s[14:15], s[2:3], 3
	s_mov_b64 s[16:17], 0
	s_delay_alu instid0(VALU_DEP_1) | instskip(SKIP_1) | instid1(VALU_DEP_2)
	v_lshl_add_u64 v[8:9], v[2:3], 3, s[8:9]
	v_add_nc_u64_e32 v[6:7], s[6:7], v[2:3]
	v_add_nc_u64_e32 v[8:9], 0x800, v[8:9]
.LBB20_2:                               ; =>This Inner Loop Header: Depth=1
	s_clause 0x1
	global_load_b64 v[10:11], v[8:9], off offset:-2048
	global_load_b64 v[12:13], v[8:9], off
	v_add_nc_u64_e32 v[14:15], s[16:17], v[6:7]
	s_add_nc_u64 s[16:17], s[16:17], s[2:3]
	s_wait_xcnt 0x0
	v_add_nc_u64_e32 v[8:9], s[14:15], v[8:9]
	s_add_nc_u64 s[18:19], s[2:3], s[16:17]
	s_delay_alu instid0(SALU_CYCLE_1)
	v_cmp_lt_i64_e64 s22, s[18:19], s[4:5]
	global_load_i8 v1, v[14:15], off
	s_and_b32 vcc_lo, exec_lo, s22
	s_wait_loadcnt 0x2
	v_sub_nc_u64_e64 v[10:11], v[10:11], s[0:1]
	s_wait_loadcnt 0x1
	v_sub_nc_u64_e64 v[12:13], v[12:13], s[0:1]
	s_delay_alu instid0(VALU_DEP_2) | instskip(NEXT) | instid1(VALU_DEP_2)
	v_add_nc_u64_e32 v[10:11], s[10:11], v[10:11]
	v_add_nc_u64_e32 v[12:13], s[10:11], v[12:13]
	s_wait_loadcnt 0x0
	v_cvt_f32_i32_e32 v1, v1
	global_load_i8 v2, v[10:11], off
	global_load_i8 v16, v[14:15], off offset:256
	global_load_i8 v17, v[12:13], off
	s_wait_loadcnt 0x2
	v_cvt_f32_i32_e32 v2, v2
	s_wait_loadcnt 0x1
	v_cvt_f32_i32_e32 v10, v16
	;; [unrolled: 2-line block ×3, first 2 shown]
	v_fmac_f32_e32 v3, v2, v1
	s_delay_alu instid0(VALU_DEP_1)
	v_fmac_f32_e32 v3, v11, v10
	s_cbranch_vccnz .LBB20_2
.LBB20_3:
	v_sub_nc_u64_e64 v[4:5], v[4:5], s[2:3]
	s_mov_b32 s14, exec_lo
	s_delay_alu instid0(VALU_DEP_1) | instskip(NEXT) | instid1(VALU_DEP_1)
	v_add_nc_u64_e32 v[4:5], s[18:19], v[4:5]
	v_cmpx_gt_i64_e64 s[4:5], v[4:5]
	s_cbranch_execz .LBB20_7
; %bb.4:
	s_mov_b32 s1, 0
	v_lshl_add_u64 v[6:7], v[4:5], 3, s[8:9]
	s_lshl_b32 s2, s21, 8
	s_mov_b32 s3, s1
	s_mov_b32 s15, s1
	s_lshl_b64 s[8:9], s[2:3], 3
.LBB20_5:                               ; =>This Inner Loop Header: Depth=1
	global_load_b64 v[8:9], v[6:7], off
	v_add_nc_u64_e32 v[10:11], s[6:7], v[4:5]
	v_add_nc_u64_e32 v[4:5], s[2:3], v[4:5]
	s_wait_xcnt 0x0
	v_add_nc_u64_e32 v[6:7], s[8:9], v[6:7]
	s_delay_alu instid0(VALU_DEP_2) | instskip(SKIP_3) | instid1(VALU_DEP_1)
	v_cmp_le_i64_e32 vcc_lo, s[4:5], v[4:5]
	s_or_b32 s15, vcc_lo, s15
	s_wait_loadcnt 0x0
	v_sub_nc_u64_e64 v[8:9], v[8:9], s[0:1]
	v_add_nc_u64_e32 v[8:9], s[10:11], v[8:9]
	global_load_i8 v1, v[10:11], off
	global_load_i8 v2, v[8:9], off
	s_wait_loadcnt 0x1
	v_cvt_f32_i32_e32 v1, v1
	s_wait_loadcnt 0x0
	v_cvt_f32_i32_e32 v2, v2
	s_delay_alu instid0(VALU_DEP_1)
	v_fmac_f32_e32 v3, v2, v1
	s_and_not1_b32 exec_lo, exec_lo, s15
	s_cbranch_execnz .LBB20_5
; %bb.6:
	s_or_b32 exec_lo, exec_lo, s15
.LBB20_7:
	s_delay_alu instid0(SALU_CYCLE_1)
	s_or_b32 exec_lo, exec_lo, s14
	v_lshlrev_b32_e32 v1, 2, v0
	s_mov_b32 s0, exec_lo
	ds_store_b32 v1, v3
	s_wait_dscnt 0x0
	s_barrier_signal -1
	s_barrier_wait -1
	v_cmpx_gt_u32_e32 0x80, v0
	s_cbranch_execz .LBB20_9
; %bb.8:
	ds_load_2addr_stride64_b32 v[2:3], v1 offset1:2
	s_wait_dscnt 0x0
	v_add_f32_e32 v2, v2, v3
	ds_store_b32 v1, v2
.LBB20_9:
	s_or_b32 exec_lo, exec_lo, s0
	s_delay_alu instid0(SALU_CYCLE_1)
	s_mov_b32 s0, exec_lo
	s_wait_dscnt 0x0
	s_barrier_signal -1
	s_barrier_wait -1
	v_cmpx_gt_u32_e32 64, v0
	s_cbranch_execz .LBB20_11
; %bb.10:
	ds_load_2addr_stride64_b32 v[2:3], v1 offset1:1
	s_wait_dscnt 0x0
	v_add_f32_e32 v2, v2, v3
	ds_store_b32 v1, v2
.LBB20_11:
	s_or_b32 exec_lo, exec_lo, s0
	s_delay_alu instid0(SALU_CYCLE_1)
	s_mov_b32 s0, exec_lo
	s_wait_dscnt 0x0
	s_barrier_signal -1
	s_barrier_wait -1
	v_cmpx_gt_u32_e32 32, v0
	s_cbranch_execz .LBB20_13
; %bb.12:
	ds_load_2addr_b32 v[2:3], v1 offset1:32
	s_wait_dscnt 0x0
	v_add_f32_e32 v2, v2, v3
	ds_store_b32 v1, v2
.LBB20_13:
	s_or_b32 exec_lo, exec_lo, s0
	s_delay_alu instid0(SALU_CYCLE_1)
	s_mov_b32 s0, exec_lo
	s_wait_dscnt 0x0
	s_barrier_signal -1
	s_barrier_wait -1
	v_cmpx_gt_u32_e32 16, v0
	s_cbranch_execz .LBB20_15
; %bb.14:
	ds_load_2addr_b32 v[2:3], v1 offset1:16
	s_wait_dscnt 0x0
	v_add_f32_e32 v2, v2, v3
	ds_store_b32 v1, v2
.LBB20_15:
	;; [unrolled: 14-line block ×5, first 2 shown]
	s_or_b32 exec_lo, exec_lo, s0
	v_cmp_eq_u32_e32 vcc_lo, 0, v0
	s_wait_dscnt 0x0
	s_barrier_signal -1
	s_barrier_wait -1
	s_and_saveexec_b32 s0, vcc_lo
	s_cbranch_execz .LBB20_23
; %bb.22:
	v_mov_b32_e32 v2, 0
	ds_load_b64 v[0:1], v2
	s_wait_dscnt 0x0
	v_add_f32_e32 v0, v0, v1
	ds_store_b32 v2, v0
.LBB20_23:
	s_or_b32 exec_lo, exec_lo, s0
	s_wait_dscnt 0x0
	s_barrier_signal -1
	s_barrier_wait -1
	s_and_saveexec_b32 s0, vcc_lo
	s_cbranch_execz .LBB20_25
; %bb.24:
	v_dual_mov_b32 v0, 0 :: v_dual_mov_b32 v1, s20
	ds_load_b32 v0, v0
	s_wait_dscnt 0x0
	global_store_b32 v1, v0, s[12:13] scale_offset
.LBB20_25:
	s_endpgm
	.section	.rodata,"a",@progbits
	.p2align	6, 0x0
	.amdhsa_kernel _ZN9rocsparseL17doti_kernel_part1ILj256ELj2ElaafEEvT1_PKT2_PKS1_PKT3_PT4_21rocsparse_index_base_
		.amdhsa_group_segment_fixed_size 1024
		.amdhsa_private_segment_fixed_size 0
		.amdhsa_kernarg_size 304
		.amdhsa_user_sgpr_count 2
		.amdhsa_user_sgpr_dispatch_ptr 0
		.amdhsa_user_sgpr_queue_ptr 0
		.amdhsa_user_sgpr_kernarg_segment_ptr 1
		.amdhsa_user_sgpr_dispatch_id 0
		.amdhsa_user_sgpr_kernarg_preload_length 0
		.amdhsa_user_sgpr_kernarg_preload_offset 0
		.amdhsa_user_sgpr_private_segment_size 0
		.amdhsa_wavefront_size32 1
		.amdhsa_uses_dynamic_stack 0
		.amdhsa_enable_private_segment 0
		.amdhsa_system_sgpr_workgroup_id_x 1
		.amdhsa_system_sgpr_workgroup_id_y 0
		.amdhsa_system_sgpr_workgroup_id_z 0
		.amdhsa_system_sgpr_workgroup_info 0
		.amdhsa_system_vgpr_workitem_id 0
		.amdhsa_next_free_vgpr 18
		.amdhsa_next_free_sgpr 23
		.amdhsa_named_barrier_count 0
		.amdhsa_reserve_vcc 1
		.amdhsa_float_round_mode_32 0
		.amdhsa_float_round_mode_16_64 0
		.amdhsa_float_denorm_mode_32 3
		.amdhsa_float_denorm_mode_16_64 3
		.amdhsa_fp16_overflow 0
		.amdhsa_memory_ordered 1
		.amdhsa_forward_progress 1
		.amdhsa_inst_pref_size 9
		.amdhsa_round_robin_scheduling 0
		.amdhsa_exception_fp_ieee_invalid_op 0
		.amdhsa_exception_fp_denorm_src 0
		.amdhsa_exception_fp_ieee_div_zero 0
		.amdhsa_exception_fp_ieee_overflow 0
		.amdhsa_exception_fp_ieee_underflow 0
		.amdhsa_exception_fp_ieee_inexact 0
		.amdhsa_exception_int_div_zero 0
	.end_amdhsa_kernel
	.section	.text._ZN9rocsparseL17doti_kernel_part1ILj256ELj2ElaafEEvT1_PKT2_PKS1_PKT3_PT4_21rocsparse_index_base_,"axG",@progbits,_ZN9rocsparseL17doti_kernel_part1ILj256ELj2ElaafEEvT1_PKT2_PKS1_PKT3_PT4_21rocsparse_index_base_,comdat
.Lfunc_end20:
	.size	_ZN9rocsparseL17doti_kernel_part1ILj256ELj2ElaafEEvT1_PKT2_PKS1_PKT3_PT4_21rocsparse_index_base_, .Lfunc_end20-_ZN9rocsparseL17doti_kernel_part1ILj256ELj2ElaafEEvT1_PKT2_PKS1_PKT3_PT4_21rocsparse_index_base_
                                        ; -- End function
	.set _ZN9rocsparseL17doti_kernel_part1ILj256ELj2ElaafEEvT1_PKT2_PKS1_PKT3_PT4_21rocsparse_index_base_.num_vgpr, 18
	.set _ZN9rocsparseL17doti_kernel_part1ILj256ELj2ElaafEEvT1_PKT2_PKS1_PKT3_PT4_21rocsparse_index_base_.num_agpr, 0
	.set _ZN9rocsparseL17doti_kernel_part1ILj256ELj2ElaafEEvT1_PKT2_PKS1_PKT3_PT4_21rocsparse_index_base_.numbered_sgpr, 23
	.set _ZN9rocsparseL17doti_kernel_part1ILj256ELj2ElaafEEvT1_PKT2_PKS1_PKT3_PT4_21rocsparse_index_base_.num_named_barrier, 0
	.set _ZN9rocsparseL17doti_kernel_part1ILj256ELj2ElaafEEvT1_PKT2_PKS1_PKT3_PT4_21rocsparse_index_base_.private_seg_size, 0
	.set _ZN9rocsparseL17doti_kernel_part1ILj256ELj2ElaafEEvT1_PKT2_PKS1_PKT3_PT4_21rocsparse_index_base_.uses_vcc, 1
	.set _ZN9rocsparseL17doti_kernel_part1ILj256ELj2ElaafEEvT1_PKT2_PKS1_PKT3_PT4_21rocsparse_index_base_.uses_flat_scratch, 0
	.set _ZN9rocsparseL17doti_kernel_part1ILj256ELj2ElaafEEvT1_PKT2_PKS1_PKT3_PT4_21rocsparse_index_base_.has_dyn_sized_stack, 0
	.set _ZN9rocsparseL17doti_kernel_part1ILj256ELj2ElaafEEvT1_PKT2_PKS1_PKT3_PT4_21rocsparse_index_base_.has_recursion, 0
	.set _ZN9rocsparseL17doti_kernel_part1ILj256ELj2ElaafEEvT1_PKT2_PKS1_PKT3_PT4_21rocsparse_index_base_.has_indirect_call, 0
	.section	.AMDGPU.csdata,"",@progbits
; Kernel info:
; codeLenInByte = 1072
; TotalNumSgprs: 25
; NumVgprs: 18
; ScratchSize: 0
; MemoryBound: 0
; FloatMode: 240
; IeeeMode: 1
; LDSByteSize: 1024 bytes/workgroup (compile time only)
; SGPRBlocks: 0
; VGPRBlocks: 1
; NumSGPRsForWavesPerEU: 25
; NumVGPRsForWavesPerEU: 18
; NamedBarCnt: 0
; Occupancy: 16
; WaveLimiterHint : 1
; COMPUTE_PGM_RSRC2:SCRATCH_EN: 0
; COMPUTE_PGM_RSRC2:USER_SGPR: 2
; COMPUTE_PGM_RSRC2:TRAP_HANDLER: 0
; COMPUTE_PGM_RSRC2:TGID_X_EN: 1
; COMPUTE_PGM_RSRC2:TGID_Y_EN: 0
; COMPUTE_PGM_RSRC2:TGID_Z_EN: 0
; COMPUTE_PGM_RSRC2:TIDIG_COMP_CNT: 0
	.section	.AMDGPU.gpr_maximums,"",@progbits
	.set amdgpu.max_num_vgpr, 0
	.set amdgpu.max_num_agpr, 0
	.set amdgpu.max_num_sgpr, 0
	.section	.AMDGPU.csdata,"",@progbits
	.type	__hip_cuid_cddda1be5d5f524,@object ; @__hip_cuid_cddda1be5d5f524
	.section	.bss,"aw",@nobits
	.globl	__hip_cuid_cddda1be5d5f524
__hip_cuid_cddda1be5d5f524:
	.byte	0                               ; 0x0
	.size	__hip_cuid_cddda1be5d5f524, 1

	.ident	"AMD clang version 22.0.0git (https://github.com/RadeonOpenCompute/llvm-project roc-7.2.4 26084 f58b06dce1f9c15707c5f808fd002e18c2accf7e)"
	.section	".note.GNU-stack","",@progbits
	.addrsig
	.addrsig_sym __hip_cuid_cddda1be5d5f524
	.amdgpu_metadata
---
amdhsa.kernels:
  - .args:
      - .offset:         0
        .size:           4
        .value_kind:     by_value
      - .address_space:  global
        .offset:         8
        .size:           8
        .value_kind:     global_buffer
      - .address_space:  global
        .offset:         16
        .size:           8
        .value_kind:     global_buffer
      - .address_space:  global
        .offset:         24
        .size:           8
        .value_kind:     global_buffer
      - .address_space:  global
        .offset:         32
        .size:           8
        .value_kind:     global_buffer
      - .offset:         40
        .size:           4
        .value_kind:     by_value
      - .offset:         48
        .size:           4
        .value_kind:     hidden_block_count_x
      - .offset:         52
        .size:           4
        .value_kind:     hidden_block_count_y
      - .offset:         56
        .size:           4
        .value_kind:     hidden_block_count_z
      - .offset:         60
        .size:           2
        .value_kind:     hidden_group_size_x
      - .offset:         62
        .size:           2
        .value_kind:     hidden_group_size_y
      - .offset:         64
        .size:           2
        .value_kind:     hidden_group_size_z
      - .offset:         66
        .size:           2
        .value_kind:     hidden_remainder_x
      - .offset:         68
        .size:           2
        .value_kind:     hidden_remainder_y
      - .offset:         70
        .size:           2
        .value_kind:     hidden_remainder_z
      - .offset:         88
        .size:           8
        .value_kind:     hidden_global_offset_x
      - .offset:         96
        .size:           8
        .value_kind:     hidden_global_offset_y
      - .offset:         104
        .size:           8
        .value_kind:     hidden_global_offset_z
      - .offset:         112
        .size:           2
        .value_kind:     hidden_grid_dims
    .group_segment_fixed_size: 1024
    .kernarg_segment_align: 8
    .kernarg_segment_size: 304
    .language:       OpenCL C
    .language_version:
      - 2
      - 0
    .max_flat_workgroup_size: 256
    .name:           _ZN9rocsparseL17doti_kernel_part1ILj256ELj2EifffEEvT1_PKT2_PKS1_PKT3_PT4_21rocsparse_index_base_
    .private_segment_fixed_size: 0
    .sgpr_count:     17
    .sgpr_spill_count: 0
    .symbol:         _ZN9rocsparseL17doti_kernel_part1ILj256ELj2EifffEEvT1_PKT2_PKS1_PKT3_PT4_21rocsparse_index_base_.kd
    .uniform_work_group_size: 1
    .uses_dynamic_stack: false
    .vgpr_count:     9
    .vgpr_spill_count: 0
    .wavefront_size: 32
  - .args:
      - .address_space:  global
        .offset:         0
        .size:           8
        .value_kind:     global_buffer
      - .address_space:  global
        .offset:         8
        .size:           8
        .value_kind:     global_buffer
    .group_segment_fixed_size: 1024
    .kernarg_segment_align: 8
    .kernarg_segment_size: 16
    .language:       OpenCL C
    .language_version:
      - 2
      - 0
    .max_flat_workgroup_size: 256
    .name:           _ZN9rocsparseL17doti_kernel_part2ILj256EfEEvPT0_S2_
    .private_segment_fixed_size: 0
    .sgpr_count:     7
    .sgpr_spill_count: 0
    .symbol:         _ZN9rocsparseL17doti_kernel_part2ILj256EfEEvPT0_S2_.kd
    .uniform_work_group_size: 1
    .uses_dynamic_stack: false
    .vgpr_count:     4
    .vgpr_spill_count: 0
    .wavefront_size: 32
  - .args:
      - .offset:         0
        .size:           8
        .value_kind:     by_value
      - .address_space:  global
        .offset:         8
        .size:           8
        .value_kind:     global_buffer
      - .address_space:  global
        .offset:         16
        .size:           8
        .value_kind:     global_buffer
      - .address_space:  global
        .offset:         24
        .size:           8
        .value_kind:     global_buffer
      - .address_space:  global
        .offset:         32
        .size:           8
        .value_kind:     global_buffer
      - .offset:         40
        .size:           4
        .value_kind:     by_value
      - .offset:         48
        .size:           4
        .value_kind:     hidden_block_count_x
      - .offset:         52
        .size:           4
        .value_kind:     hidden_block_count_y
      - .offset:         56
        .size:           4
        .value_kind:     hidden_block_count_z
      - .offset:         60
        .size:           2
        .value_kind:     hidden_group_size_x
      - .offset:         62
        .size:           2
        .value_kind:     hidden_group_size_y
      - .offset:         64
        .size:           2
        .value_kind:     hidden_group_size_z
      - .offset:         66
        .size:           2
        .value_kind:     hidden_remainder_x
      - .offset:         68
        .size:           2
        .value_kind:     hidden_remainder_y
      - .offset:         70
        .size:           2
        .value_kind:     hidden_remainder_z
      - .offset:         88
        .size:           8
        .value_kind:     hidden_global_offset_x
      - .offset:         96
        .size:           8
        .value_kind:     hidden_global_offset_y
      - .offset:         104
        .size:           8
        .value_kind:     hidden_global_offset_z
      - .offset:         112
        .size:           2
        .value_kind:     hidden_grid_dims
    .group_segment_fixed_size: 1024
    .kernarg_segment_align: 8
    .kernarg_segment_size: 304
    .language:       OpenCL C
    .language_version:
      - 2
      - 0
    .max_flat_workgroup_size: 256
    .name:           _ZN9rocsparseL17doti_kernel_part1ILj256ELj2ElfffEEvT1_PKT2_PKS1_PKT3_PT4_21rocsparse_index_base_
    .private_segment_fixed_size: 0
    .sgpr_count:     25
    .sgpr_spill_count: 0
    .symbol:         _ZN9rocsparseL17doti_kernel_part1ILj256ELj2ElfffEEvT1_PKT2_PKS1_PKT3_PT4_21rocsparse_index_base_.kd
    .uniform_work_group_size: 1
    .uses_dynamic_stack: false
    .vgpr_count:     16
    .vgpr_spill_count: 0
    .wavefront_size: 32
  - .args:
      - .offset:         0
        .size:           4
        .value_kind:     by_value
      - .address_space:  global
        .offset:         8
        .size:           8
        .value_kind:     global_buffer
      - .address_space:  global
        .offset:         16
        .size:           8
        .value_kind:     global_buffer
      - .address_space:  global
        .offset:         24
        .size:           8
        .value_kind:     global_buffer
      - .address_space:  global
        .offset:         32
        .size:           8
        .value_kind:     global_buffer
      - .offset:         40
        .size:           4
        .value_kind:     by_value
      - .offset:         48
        .size:           4
        .value_kind:     hidden_block_count_x
      - .offset:         52
        .size:           4
        .value_kind:     hidden_block_count_y
      - .offset:         56
        .size:           4
        .value_kind:     hidden_block_count_z
      - .offset:         60
        .size:           2
        .value_kind:     hidden_group_size_x
      - .offset:         62
        .size:           2
        .value_kind:     hidden_group_size_y
      - .offset:         64
        .size:           2
        .value_kind:     hidden_group_size_z
      - .offset:         66
        .size:           2
        .value_kind:     hidden_remainder_x
      - .offset:         68
        .size:           2
        .value_kind:     hidden_remainder_y
      - .offset:         70
        .size:           2
        .value_kind:     hidden_remainder_z
      - .offset:         88
        .size:           8
        .value_kind:     hidden_global_offset_x
      - .offset:         96
        .size:           8
        .value_kind:     hidden_global_offset_y
      - .offset:         104
        .size:           8
        .value_kind:     hidden_global_offset_z
      - .offset:         112
        .size:           2
        .value_kind:     hidden_grid_dims
    .group_segment_fixed_size: 2048
    .kernarg_segment_align: 8
    .kernarg_segment_size: 304
    .language:       OpenCL C
    .language_version:
      - 2
      - 0
    .max_flat_workgroup_size: 256
    .name:           _ZN9rocsparseL17doti_kernel_part1ILj256ELj2EidddEEvT1_PKT2_PKS1_PKT3_PT4_21rocsparse_index_base_
    .private_segment_fixed_size: 0
    .sgpr_count:     17
    .sgpr_spill_count: 0
    .symbol:         _ZN9rocsparseL17doti_kernel_part1ILj256ELj2EidddEEvT1_PKT2_PKS1_PKT3_PT4_21rocsparse_index_base_.kd
    .uniform_work_group_size: 1
    .uses_dynamic_stack: false
    .vgpr_count:     13
    .vgpr_spill_count: 0
    .wavefront_size: 32
  - .args:
      - .address_space:  global
        .offset:         0
        .size:           8
        .value_kind:     global_buffer
      - .address_space:  global
        .offset:         8
        .size:           8
        .value_kind:     global_buffer
    .group_segment_fixed_size: 2048
    .kernarg_segment_align: 8
    .kernarg_segment_size: 16
    .language:       OpenCL C
    .language_version:
      - 2
      - 0
    .max_flat_workgroup_size: 256
    .name:           _ZN9rocsparseL17doti_kernel_part2ILj256EdEEvPT0_S2_
    .private_segment_fixed_size: 0
    .sgpr_count:     7
    .sgpr_spill_count: 0
    .symbol:         _ZN9rocsparseL17doti_kernel_part2ILj256EdEEvPT0_S2_.kd
    .uniform_work_group_size: 1
    .uses_dynamic_stack: false
    .vgpr_count:     6
    .vgpr_spill_count: 0
    .wavefront_size: 32
  - .args:
      - .offset:         0
        .size:           8
        .value_kind:     by_value
      - .address_space:  global
        .offset:         8
        .size:           8
        .value_kind:     global_buffer
      - .address_space:  global
        .offset:         16
        .size:           8
        .value_kind:     global_buffer
      - .address_space:  global
        .offset:         24
        .size:           8
        .value_kind:     global_buffer
      - .address_space:  global
        .offset:         32
        .size:           8
        .value_kind:     global_buffer
      - .offset:         40
        .size:           4
        .value_kind:     by_value
      - .offset:         48
        .size:           4
        .value_kind:     hidden_block_count_x
      - .offset:         52
        .size:           4
        .value_kind:     hidden_block_count_y
      - .offset:         56
        .size:           4
        .value_kind:     hidden_block_count_z
      - .offset:         60
        .size:           2
        .value_kind:     hidden_group_size_x
      - .offset:         62
        .size:           2
        .value_kind:     hidden_group_size_y
      - .offset:         64
        .size:           2
        .value_kind:     hidden_group_size_z
      - .offset:         66
        .size:           2
        .value_kind:     hidden_remainder_x
      - .offset:         68
        .size:           2
        .value_kind:     hidden_remainder_y
      - .offset:         70
        .size:           2
        .value_kind:     hidden_remainder_z
      - .offset:         88
        .size:           8
        .value_kind:     hidden_global_offset_x
      - .offset:         96
        .size:           8
        .value_kind:     hidden_global_offset_y
      - .offset:         104
        .size:           8
        .value_kind:     hidden_global_offset_z
      - .offset:         112
        .size:           2
        .value_kind:     hidden_grid_dims
    .group_segment_fixed_size: 2048
    .kernarg_segment_align: 8
    .kernarg_segment_size: 304
    .language:       OpenCL C
    .language_version:
      - 2
      - 0
    .max_flat_workgroup_size: 256
    .name:           _ZN9rocsparseL17doti_kernel_part1ILj256ELj2EldddEEvT1_PKT2_PKS1_PKT3_PT4_21rocsparse_index_base_
    .private_segment_fixed_size: 0
    .sgpr_count:     23
    .sgpr_spill_count: 0
    .symbol:         _ZN9rocsparseL17doti_kernel_part1ILj256ELj2EldddEEvT1_PKT2_PKS1_PKT3_PT4_21rocsparse_index_base_.kd
    .uniform_work_group_size: 1
    .uses_dynamic_stack: false
    .vgpr_count:     20
    .vgpr_spill_count: 0
    .wavefront_size: 32
  - .args:
      - .offset:         0
        .size:           4
        .value_kind:     by_value
      - .address_space:  global
        .offset:         8
        .size:           8
        .value_kind:     global_buffer
      - .address_space:  global
        .offset:         16
        .size:           8
        .value_kind:     global_buffer
      - .address_space:  global
        .offset:         24
        .size:           8
        .value_kind:     global_buffer
      - .address_space:  global
        .offset:         32
        .size:           8
        .value_kind:     global_buffer
      - .offset:         40
        .size:           4
        .value_kind:     by_value
      - .offset:         48
        .size:           4
        .value_kind:     hidden_block_count_x
      - .offset:         52
        .size:           4
        .value_kind:     hidden_block_count_y
      - .offset:         56
        .size:           4
        .value_kind:     hidden_block_count_z
      - .offset:         60
        .size:           2
        .value_kind:     hidden_group_size_x
      - .offset:         62
        .size:           2
        .value_kind:     hidden_group_size_y
      - .offset:         64
        .size:           2
        .value_kind:     hidden_group_size_z
      - .offset:         66
        .size:           2
        .value_kind:     hidden_remainder_x
      - .offset:         68
        .size:           2
        .value_kind:     hidden_remainder_y
      - .offset:         70
        .size:           2
        .value_kind:     hidden_remainder_z
      - .offset:         88
        .size:           8
        .value_kind:     hidden_global_offset_x
      - .offset:         96
        .size:           8
        .value_kind:     hidden_global_offset_y
      - .offset:         104
        .size:           8
        .value_kind:     hidden_global_offset_z
      - .offset:         112
        .size:           2
        .value_kind:     hidden_grid_dims
    .group_segment_fixed_size: 2048
    .kernarg_segment_align: 8
    .kernarg_segment_size: 304
    .language:       OpenCL C
    .language_version:
      - 2
      - 0
    .max_flat_workgroup_size: 256
    .name:           _ZN9rocsparseL17doti_kernel_part1ILj256ELj2Ei21rocsparse_complex_numIfES2_S2_EEvT1_PKT2_PKS3_PKT3_PT4_21rocsparse_index_base_
    .private_segment_fixed_size: 0
    .sgpr_count:     17
    .sgpr_spill_count: 0
    .symbol:         _ZN9rocsparseL17doti_kernel_part1ILj256ELj2Ei21rocsparse_complex_numIfES2_S2_EEvT1_PKT2_PKS3_PKT3_PT4_21rocsparse_index_base_.kd
    .uniform_work_group_size: 1
    .uses_dynamic_stack: false
    .vgpr_count:     13
    .vgpr_spill_count: 0
    .wavefront_size: 32
  - .args:
      - .address_space:  global
        .offset:         0
        .size:           8
        .value_kind:     global_buffer
      - .address_space:  global
        .offset:         8
        .size:           8
        .value_kind:     global_buffer
    .group_segment_fixed_size: 2048
    .kernarg_segment_align: 8
    .kernarg_segment_size: 16
    .language:       OpenCL C
    .language_version:
      - 2
      - 0
    .max_flat_workgroup_size: 256
    .name:           _ZN9rocsparseL17doti_kernel_part2ILj256E21rocsparse_complex_numIfEEEvPT0_S4_
    .private_segment_fixed_size: 0
    .sgpr_count:     7
    .sgpr_spill_count: 0
    .symbol:         _ZN9rocsparseL17doti_kernel_part2ILj256E21rocsparse_complex_numIfEEEvPT0_S4_.kd
    .uniform_work_group_size: 1
    .uses_dynamic_stack: false
    .vgpr_count:     6
    .vgpr_spill_count: 0
    .wavefront_size: 32
  - .args:
      - .offset:         0
        .size:           8
        .value_kind:     by_value
      - .address_space:  global
        .offset:         8
        .size:           8
        .value_kind:     global_buffer
      - .address_space:  global
        .offset:         16
        .size:           8
        .value_kind:     global_buffer
      - .address_space:  global
        .offset:         24
        .size:           8
        .value_kind:     global_buffer
      - .address_space:  global
        .offset:         32
        .size:           8
        .value_kind:     global_buffer
      - .offset:         40
        .size:           4
        .value_kind:     by_value
      - .offset:         48
        .size:           4
        .value_kind:     hidden_block_count_x
      - .offset:         52
        .size:           4
        .value_kind:     hidden_block_count_y
      - .offset:         56
        .size:           4
        .value_kind:     hidden_block_count_z
      - .offset:         60
        .size:           2
        .value_kind:     hidden_group_size_x
      - .offset:         62
        .size:           2
        .value_kind:     hidden_group_size_y
      - .offset:         64
        .size:           2
        .value_kind:     hidden_group_size_z
      - .offset:         66
        .size:           2
        .value_kind:     hidden_remainder_x
      - .offset:         68
        .size:           2
        .value_kind:     hidden_remainder_y
      - .offset:         70
        .size:           2
        .value_kind:     hidden_remainder_z
      - .offset:         88
        .size:           8
        .value_kind:     hidden_global_offset_x
      - .offset:         96
        .size:           8
        .value_kind:     hidden_global_offset_y
      - .offset:         104
        .size:           8
        .value_kind:     hidden_global_offset_z
      - .offset:         112
        .size:           2
        .value_kind:     hidden_grid_dims
    .group_segment_fixed_size: 2048
    .kernarg_segment_align: 8
    .kernarg_segment_size: 304
    .language:       OpenCL C
    .language_version:
      - 2
      - 0
    .max_flat_workgroup_size: 256
    .name:           _ZN9rocsparseL17doti_kernel_part1ILj256ELj2El21rocsparse_complex_numIfES2_S2_EEvT1_PKT2_PKS3_PKT3_PT4_21rocsparse_index_base_
    .private_segment_fixed_size: 0
    .sgpr_count:     25
    .sgpr_spill_count: 0
    .symbol:         _ZN9rocsparseL17doti_kernel_part1ILj256ELj2El21rocsparse_complex_numIfES2_S2_EEvT1_PKT2_PKS3_PKT3_PT4_21rocsparse_index_base_.kd
    .uniform_work_group_size: 1
    .uses_dynamic_stack: false
    .vgpr_count:     20
    .vgpr_spill_count: 0
    .wavefront_size: 32
  - .args:
      - .offset:         0
        .size:           4
        .value_kind:     by_value
      - .address_space:  global
        .offset:         8
        .size:           8
        .value_kind:     global_buffer
      - .address_space:  global
        .offset:         16
        .size:           8
        .value_kind:     global_buffer
      - .address_space:  global
        .offset:         24
        .size:           8
        .value_kind:     global_buffer
      - .address_space:  global
        .offset:         32
        .size:           8
        .value_kind:     global_buffer
      - .offset:         40
        .size:           4
        .value_kind:     by_value
      - .offset:         48
        .size:           4
        .value_kind:     hidden_block_count_x
      - .offset:         52
        .size:           4
        .value_kind:     hidden_block_count_y
      - .offset:         56
        .size:           4
        .value_kind:     hidden_block_count_z
      - .offset:         60
        .size:           2
        .value_kind:     hidden_group_size_x
      - .offset:         62
        .size:           2
        .value_kind:     hidden_group_size_y
      - .offset:         64
        .size:           2
        .value_kind:     hidden_group_size_z
      - .offset:         66
        .size:           2
        .value_kind:     hidden_remainder_x
      - .offset:         68
        .size:           2
        .value_kind:     hidden_remainder_y
      - .offset:         70
        .size:           2
        .value_kind:     hidden_remainder_z
      - .offset:         88
        .size:           8
        .value_kind:     hidden_global_offset_x
      - .offset:         96
        .size:           8
        .value_kind:     hidden_global_offset_y
      - .offset:         104
        .size:           8
        .value_kind:     hidden_global_offset_z
      - .offset:         112
        .size:           2
        .value_kind:     hidden_grid_dims
    .group_segment_fixed_size: 4096
    .kernarg_segment_align: 8
    .kernarg_segment_size: 304
    .language:       OpenCL C
    .language_version:
      - 2
      - 0
    .max_flat_workgroup_size: 256
    .name:           _ZN9rocsparseL17doti_kernel_part1ILj256ELj2Ei21rocsparse_complex_numIdES2_S2_EEvT1_PKT2_PKS3_PKT3_PT4_21rocsparse_index_base_
    .private_segment_fixed_size: 0
    .sgpr_count:     17
    .sgpr_spill_count: 0
    .symbol:         _ZN9rocsparseL17doti_kernel_part1ILj256ELj2Ei21rocsparse_complex_numIdES2_S2_EEvT1_PKT2_PKS3_PKT3_PT4_21rocsparse_index_base_.kd
    .uniform_work_group_size: 1
    .uses_dynamic_stack: false
    .vgpr_count:     22
    .vgpr_spill_count: 0
    .wavefront_size: 32
  - .args:
      - .address_space:  global
        .offset:         0
        .size:           8
        .value_kind:     global_buffer
      - .address_space:  global
        .offset:         8
        .size:           8
        .value_kind:     global_buffer
    .group_segment_fixed_size: 4096
    .kernarg_segment_align: 8
    .kernarg_segment_size: 16
    .language:       OpenCL C
    .language_version:
      - 2
      - 0
    .max_flat_workgroup_size: 256
    .name:           _ZN9rocsparseL17doti_kernel_part2ILj256E21rocsparse_complex_numIdEEEvPT0_S4_
    .private_segment_fixed_size: 0
    .sgpr_count:     7
    .sgpr_spill_count: 0
    .symbol:         _ZN9rocsparseL17doti_kernel_part2ILj256E21rocsparse_complex_numIdEEEvPT0_S4_.kd
    .uniform_work_group_size: 1
    .uses_dynamic_stack: false
    .vgpr_count:     10
    .vgpr_spill_count: 0
    .wavefront_size: 32
  - .args:
      - .offset:         0
        .size:           8
        .value_kind:     by_value
      - .address_space:  global
        .offset:         8
        .size:           8
        .value_kind:     global_buffer
      - .address_space:  global
        .offset:         16
        .size:           8
        .value_kind:     global_buffer
      - .address_space:  global
        .offset:         24
        .size:           8
        .value_kind:     global_buffer
      - .address_space:  global
        .offset:         32
        .size:           8
        .value_kind:     global_buffer
      - .offset:         40
        .size:           4
        .value_kind:     by_value
      - .offset:         48
        .size:           4
        .value_kind:     hidden_block_count_x
      - .offset:         52
        .size:           4
        .value_kind:     hidden_block_count_y
      - .offset:         56
        .size:           4
        .value_kind:     hidden_block_count_z
      - .offset:         60
        .size:           2
        .value_kind:     hidden_group_size_x
      - .offset:         62
        .size:           2
        .value_kind:     hidden_group_size_y
      - .offset:         64
        .size:           2
        .value_kind:     hidden_group_size_z
      - .offset:         66
        .size:           2
        .value_kind:     hidden_remainder_x
      - .offset:         68
        .size:           2
        .value_kind:     hidden_remainder_y
      - .offset:         70
        .size:           2
        .value_kind:     hidden_remainder_z
      - .offset:         88
        .size:           8
        .value_kind:     hidden_global_offset_x
      - .offset:         96
        .size:           8
        .value_kind:     hidden_global_offset_y
      - .offset:         104
        .size:           8
        .value_kind:     hidden_global_offset_z
      - .offset:         112
        .size:           2
        .value_kind:     hidden_grid_dims
    .group_segment_fixed_size: 4096
    .kernarg_segment_align: 8
    .kernarg_segment_size: 304
    .language:       OpenCL C
    .language_version:
      - 2
      - 0
    .max_flat_workgroup_size: 256
    .name:           _ZN9rocsparseL17doti_kernel_part1ILj256ELj2El21rocsparse_complex_numIdES2_S2_EEvT1_PKT2_PKS3_PKT3_PT4_21rocsparse_index_base_
    .private_segment_fixed_size: 0
    .sgpr_count:     25
    .sgpr_spill_count: 0
    .symbol:         _ZN9rocsparseL17doti_kernel_part1ILj256ELj2El21rocsparse_complex_numIdES2_S2_EEvT1_PKT2_PKS3_PKT3_PT4_21rocsparse_index_base_.kd
    .uniform_work_group_size: 1
    .uses_dynamic_stack: false
    .vgpr_count:     30
    .vgpr_spill_count: 0
    .wavefront_size: 32
  - .args:
      - .offset:         0
        .size:           4
        .value_kind:     by_value
      - .address_space:  global
        .offset:         8
        .size:           8
        .value_kind:     global_buffer
      - .address_space:  global
        .offset:         16
        .size:           8
        .value_kind:     global_buffer
      - .address_space:  global
        .offset:         24
        .size:           8
        .value_kind:     global_buffer
      - .address_space:  global
        .offset:         32
        .size:           8
        .value_kind:     global_buffer
      - .offset:         40
        .size:           4
        .value_kind:     by_value
      - .offset:         48
        .size:           4
        .value_kind:     hidden_block_count_x
      - .offset:         52
        .size:           4
        .value_kind:     hidden_block_count_y
      - .offset:         56
        .size:           4
        .value_kind:     hidden_block_count_z
      - .offset:         60
        .size:           2
        .value_kind:     hidden_group_size_x
      - .offset:         62
        .size:           2
        .value_kind:     hidden_group_size_y
      - .offset:         64
        .size:           2
        .value_kind:     hidden_group_size_z
      - .offset:         66
        .size:           2
        .value_kind:     hidden_remainder_x
      - .offset:         68
        .size:           2
        .value_kind:     hidden_remainder_y
      - .offset:         70
        .size:           2
        .value_kind:     hidden_remainder_z
      - .offset:         88
        .size:           8
        .value_kind:     hidden_global_offset_x
      - .offset:         96
        .size:           8
        .value_kind:     hidden_global_offset_y
      - .offset:         104
        .size:           8
        .value_kind:     hidden_global_offset_z
      - .offset:         112
        .size:           2
        .value_kind:     hidden_grid_dims
    .group_segment_fixed_size: 1024
    .kernarg_segment_align: 8
    .kernarg_segment_size: 304
    .language:       OpenCL C
    .language_version:
      - 2
      - 0
    .max_flat_workgroup_size: 256
    .name:           _ZN9rocsparseL17doti_kernel_part1ILj256ELj2EiaaiEEvT1_PKT2_PKS1_PKT3_PT4_21rocsparse_index_base_
    .private_segment_fixed_size: 0
    .sgpr_count:     17
    .sgpr_spill_count: 0
    .symbol:         _ZN9rocsparseL17doti_kernel_part1ILj256ELj2EiaaiEEvT1_PKT2_PKS1_PKT3_PT4_21rocsparse_index_base_.kd
    .uniform_work_group_size: 1
    .uses_dynamic_stack: false
    .vgpr_count:     9
    .vgpr_spill_count: 0
    .wavefront_size: 32
  - .args:
      - .address_space:  global
        .offset:         0
        .size:           8
        .value_kind:     global_buffer
      - .address_space:  global
        .offset:         8
        .size:           8
        .value_kind:     global_buffer
    .group_segment_fixed_size: 1024
    .kernarg_segment_align: 8
    .kernarg_segment_size: 16
    .language:       OpenCL C
    .language_version:
      - 2
      - 0
    .max_flat_workgroup_size: 256
    .name:           _ZN9rocsparseL17doti_kernel_part2ILj256EiEEvPT0_S2_
    .private_segment_fixed_size: 0
    .sgpr_count:     7
    .sgpr_spill_count: 0
    .symbol:         _ZN9rocsparseL17doti_kernel_part2ILj256EiEEvPT0_S2_.kd
    .uniform_work_group_size: 1
    .uses_dynamic_stack: false
    .vgpr_count:     4
    .vgpr_spill_count: 0
    .wavefront_size: 32
  - .args:
      - .offset:         0
        .size:           8
        .value_kind:     by_value
      - .address_space:  global
        .offset:         8
        .size:           8
        .value_kind:     global_buffer
      - .address_space:  global
        .offset:         16
        .size:           8
        .value_kind:     global_buffer
      - .address_space:  global
        .offset:         24
        .size:           8
        .value_kind:     global_buffer
      - .address_space:  global
        .offset:         32
        .size:           8
        .value_kind:     global_buffer
      - .offset:         40
        .size:           4
        .value_kind:     by_value
      - .offset:         48
        .size:           4
        .value_kind:     hidden_block_count_x
      - .offset:         52
        .size:           4
        .value_kind:     hidden_block_count_y
      - .offset:         56
        .size:           4
        .value_kind:     hidden_block_count_z
      - .offset:         60
        .size:           2
        .value_kind:     hidden_group_size_x
      - .offset:         62
        .size:           2
        .value_kind:     hidden_group_size_y
      - .offset:         64
        .size:           2
        .value_kind:     hidden_group_size_z
      - .offset:         66
        .size:           2
        .value_kind:     hidden_remainder_x
      - .offset:         68
        .size:           2
        .value_kind:     hidden_remainder_y
      - .offset:         70
        .size:           2
        .value_kind:     hidden_remainder_z
      - .offset:         88
        .size:           8
        .value_kind:     hidden_global_offset_x
      - .offset:         96
        .size:           8
        .value_kind:     hidden_global_offset_y
      - .offset:         104
        .size:           8
        .value_kind:     hidden_global_offset_z
      - .offset:         112
        .size:           2
        .value_kind:     hidden_grid_dims
    .group_segment_fixed_size: 1024
    .kernarg_segment_align: 8
    .kernarg_segment_size: 304
    .language:       OpenCL C
    .language_version:
      - 2
      - 0
    .max_flat_workgroup_size: 256
    .name:           _ZN9rocsparseL17doti_kernel_part1ILj256ELj2ElaaiEEvT1_PKT2_PKS1_PKT3_PT4_21rocsparse_index_base_
    .private_segment_fixed_size: 0
    .sgpr_count:     25
    .sgpr_spill_count: 0
    .symbol:         _ZN9rocsparseL17doti_kernel_part1ILj256ELj2ElaaiEEvT1_PKT2_PKS1_PKT3_PT4_21rocsparse_index_base_.kd
    .uniform_work_group_size: 1
    .uses_dynamic_stack: false
    .vgpr_count:     18
    .vgpr_spill_count: 0
    .wavefront_size: 32
  - .args:
      - .offset:         0
        .size:           4
        .value_kind:     by_value
      - .address_space:  global
        .offset:         8
        .size:           8
        .value_kind:     global_buffer
      - .address_space:  global
        .offset:         16
        .size:           8
        .value_kind:     global_buffer
      - .address_space:  global
        .offset:         24
        .size:           8
        .value_kind:     global_buffer
      - .address_space:  global
        .offset:         32
        .size:           8
        .value_kind:     global_buffer
      - .offset:         40
        .size:           4
        .value_kind:     by_value
      - .offset:         48
        .size:           4
        .value_kind:     hidden_block_count_x
      - .offset:         52
        .size:           4
        .value_kind:     hidden_block_count_y
      - .offset:         56
        .size:           4
        .value_kind:     hidden_block_count_z
      - .offset:         60
        .size:           2
        .value_kind:     hidden_group_size_x
      - .offset:         62
        .size:           2
        .value_kind:     hidden_group_size_y
      - .offset:         64
        .size:           2
        .value_kind:     hidden_group_size_z
      - .offset:         66
        .size:           2
        .value_kind:     hidden_remainder_x
      - .offset:         68
        .size:           2
        .value_kind:     hidden_remainder_y
      - .offset:         70
        .size:           2
        .value_kind:     hidden_remainder_z
      - .offset:         88
        .size:           8
        .value_kind:     hidden_global_offset_x
      - .offset:         96
        .size:           8
        .value_kind:     hidden_global_offset_y
      - .offset:         104
        .size:           8
        .value_kind:     hidden_global_offset_z
      - .offset:         112
        .size:           2
        .value_kind:     hidden_grid_dims
    .group_segment_fixed_size: 1024
    .kernarg_segment_align: 8
    .kernarg_segment_size: 304
    .language:       OpenCL C
    .language_version:
      - 2
      - 0
    .max_flat_workgroup_size: 256
    .name:           _ZN9rocsparseL17doti_kernel_part1ILj256ELj2EiDF16_DF16_fEEvT1_PKT2_PKS1_PKT3_PT4_21rocsparse_index_base_
    .private_segment_fixed_size: 0
    .sgpr_count:     17
    .sgpr_spill_count: 0
    .symbol:         _ZN9rocsparseL17doti_kernel_part1ILj256ELj2EiDF16_DF16_fEEvT1_PKT2_PKS1_PKT3_PT4_21rocsparse_index_base_.kd
    .uniform_work_group_size: 1
    .uses_dynamic_stack: false
    .vgpr_count:     9
    .vgpr_spill_count: 0
    .wavefront_size: 32
  - .args:
      - .offset:         0
        .size:           8
        .value_kind:     by_value
      - .address_space:  global
        .offset:         8
        .size:           8
        .value_kind:     global_buffer
      - .address_space:  global
        .offset:         16
        .size:           8
        .value_kind:     global_buffer
      - .address_space:  global
        .offset:         24
        .size:           8
        .value_kind:     global_buffer
      - .address_space:  global
        .offset:         32
        .size:           8
        .value_kind:     global_buffer
      - .offset:         40
        .size:           4
        .value_kind:     by_value
      - .offset:         48
        .size:           4
        .value_kind:     hidden_block_count_x
      - .offset:         52
        .size:           4
        .value_kind:     hidden_block_count_y
      - .offset:         56
        .size:           4
        .value_kind:     hidden_block_count_z
      - .offset:         60
        .size:           2
        .value_kind:     hidden_group_size_x
      - .offset:         62
        .size:           2
        .value_kind:     hidden_group_size_y
      - .offset:         64
        .size:           2
        .value_kind:     hidden_group_size_z
      - .offset:         66
        .size:           2
        .value_kind:     hidden_remainder_x
      - .offset:         68
        .size:           2
        .value_kind:     hidden_remainder_y
      - .offset:         70
        .size:           2
        .value_kind:     hidden_remainder_z
      - .offset:         88
        .size:           8
        .value_kind:     hidden_global_offset_x
      - .offset:         96
        .size:           8
        .value_kind:     hidden_global_offset_y
      - .offset:         104
        .size:           8
        .value_kind:     hidden_global_offset_z
      - .offset:         112
        .size:           2
        .value_kind:     hidden_grid_dims
    .group_segment_fixed_size: 1024
    .kernarg_segment_align: 8
    .kernarg_segment_size: 304
    .language:       OpenCL C
    .language_version:
      - 2
      - 0
    .max_flat_workgroup_size: 256
    .name:           _ZN9rocsparseL17doti_kernel_part1ILj256ELj2ElDF16_DF16_fEEvT1_PKT2_PKS1_PKT3_PT4_21rocsparse_index_base_
    .private_segment_fixed_size: 0
    .sgpr_count:     25
    .sgpr_spill_count: 0
    .symbol:         _ZN9rocsparseL17doti_kernel_part1ILj256ELj2ElDF16_DF16_fEEvT1_PKT2_PKS1_PKT3_PT4_21rocsparse_index_base_.kd
    .uniform_work_group_size: 1
    .uses_dynamic_stack: false
    .vgpr_count:     16
    .vgpr_spill_count: 0
    .wavefront_size: 32
  - .args:
      - .offset:         0
        .size:           4
        .value_kind:     by_value
      - .address_space:  global
        .offset:         8
        .size:           8
        .value_kind:     global_buffer
      - .address_space:  global
        .offset:         16
        .size:           8
        .value_kind:     global_buffer
      - .address_space:  global
        .offset:         24
        .size:           8
        .value_kind:     global_buffer
      - .address_space:  global
        .offset:         32
        .size:           8
        .value_kind:     global_buffer
      - .offset:         40
        .size:           4
        .value_kind:     by_value
      - .offset:         48
        .size:           4
        .value_kind:     hidden_block_count_x
      - .offset:         52
        .size:           4
        .value_kind:     hidden_block_count_y
      - .offset:         56
        .size:           4
        .value_kind:     hidden_block_count_z
      - .offset:         60
        .size:           2
        .value_kind:     hidden_group_size_x
      - .offset:         62
        .size:           2
        .value_kind:     hidden_group_size_y
      - .offset:         64
        .size:           2
        .value_kind:     hidden_group_size_z
      - .offset:         66
        .size:           2
        .value_kind:     hidden_remainder_x
      - .offset:         68
        .size:           2
        .value_kind:     hidden_remainder_y
      - .offset:         70
        .size:           2
        .value_kind:     hidden_remainder_z
      - .offset:         88
        .size:           8
        .value_kind:     hidden_global_offset_x
      - .offset:         96
        .size:           8
        .value_kind:     hidden_global_offset_y
      - .offset:         104
        .size:           8
        .value_kind:     hidden_global_offset_z
      - .offset:         112
        .size:           2
        .value_kind:     hidden_grid_dims
    .group_segment_fixed_size: 1024
    .kernarg_segment_align: 8
    .kernarg_segment_size: 304
    .language:       OpenCL C
    .language_version:
      - 2
      - 0
    .max_flat_workgroup_size: 256
    .name:           _ZN9rocsparseL17doti_kernel_part1ILj256ELj2Ei18rocsparse_bfloat16S1_fEEvT1_PKT2_PKS2_PKT3_PT4_21rocsparse_index_base_
    .private_segment_fixed_size: 0
    .sgpr_count:     17
    .sgpr_spill_count: 0
    .symbol:         _ZN9rocsparseL17doti_kernel_part1ILj256ELj2Ei18rocsparse_bfloat16S1_fEEvT1_PKT2_PKS2_PKT3_PT4_21rocsparse_index_base_.kd
    .uniform_work_group_size: 1
    .uses_dynamic_stack: false
    .vgpr_count:     9
    .vgpr_spill_count: 0
    .wavefront_size: 32
  - .args:
      - .offset:         0
        .size:           8
        .value_kind:     by_value
      - .address_space:  global
        .offset:         8
        .size:           8
        .value_kind:     global_buffer
      - .address_space:  global
        .offset:         16
        .size:           8
        .value_kind:     global_buffer
      - .address_space:  global
        .offset:         24
        .size:           8
        .value_kind:     global_buffer
      - .address_space:  global
        .offset:         32
        .size:           8
        .value_kind:     global_buffer
      - .offset:         40
        .size:           4
        .value_kind:     by_value
      - .offset:         48
        .size:           4
        .value_kind:     hidden_block_count_x
      - .offset:         52
        .size:           4
        .value_kind:     hidden_block_count_y
      - .offset:         56
        .size:           4
        .value_kind:     hidden_block_count_z
      - .offset:         60
        .size:           2
        .value_kind:     hidden_group_size_x
      - .offset:         62
        .size:           2
        .value_kind:     hidden_group_size_y
      - .offset:         64
        .size:           2
        .value_kind:     hidden_group_size_z
      - .offset:         66
        .size:           2
        .value_kind:     hidden_remainder_x
      - .offset:         68
        .size:           2
        .value_kind:     hidden_remainder_y
      - .offset:         70
        .size:           2
        .value_kind:     hidden_remainder_z
      - .offset:         88
        .size:           8
        .value_kind:     hidden_global_offset_x
      - .offset:         96
        .size:           8
        .value_kind:     hidden_global_offset_y
      - .offset:         104
        .size:           8
        .value_kind:     hidden_global_offset_z
      - .offset:         112
        .size:           2
        .value_kind:     hidden_grid_dims
    .group_segment_fixed_size: 1024
    .kernarg_segment_align: 8
    .kernarg_segment_size: 304
    .language:       OpenCL C
    .language_version:
      - 2
      - 0
    .max_flat_workgroup_size: 256
    .name:           _ZN9rocsparseL17doti_kernel_part1ILj256ELj2El18rocsparse_bfloat16S1_fEEvT1_PKT2_PKS2_PKT3_PT4_21rocsparse_index_base_
    .private_segment_fixed_size: 0
    .sgpr_count:     25
    .sgpr_spill_count: 0
    .symbol:         _ZN9rocsparseL17doti_kernel_part1ILj256ELj2El18rocsparse_bfloat16S1_fEEvT1_PKT2_PKS2_PKT3_PT4_21rocsparse_index_base_.kd
    .uniform_work_group_size: 1
    .uses_dynamic_stack: false
    .vgpr_count:     16
    .vgpr_spill_count: 0
    .wavefront_size: 32
  - .args:
      - .offset:         0
        .size:           4
        .value_kind:     by_value
      - .address_space:  global
        .offset:         8
        .size:           8
        .value_kind:     global_buffer
      - .address_space:  global
        .offset:         16
        .size:           8
        .value_kind:     global_buffer
      - .address_space:  global
        .offset:         24
        .size:           8
        .value_kind:     global_buffer
      - .address_space:  global
        .offset:         32
        .size:           8
        .value_kind:     global_buffer
      - .offset:         40
        .size:           4
        .value_kind:     by_value
      - .offset:         48
        .size:           4
        .value_kind:     hidden_block_count_x
      - .offset:         52
        .size:           4
        .value_kind:     hidden_block_count_y
      - .offset:         56
        .size:           4
        .value_kind:     hidden_block_count_z
      - .offset:         60
        .size:           2
        .value_kind:     hidden_group_size_x
      - .offset:         62
        .size:           2
        .value_kind:     hidden_group_size_y
      - .offset:         64
        .size:           2
        .value_kind:     hidden_group_size_z
      - .offset:         66
        .size:           2
        .value_kind:     hidden_remainder_x
      - .offset:         68
        .size:           2
        .value_kind:     hidden_remainder_y
      - .offset:         70
        .size:           2
        .value_kind:     hidden_remainder_z
      - .offset:         88
        .size:           8
        .value_kind:     hidden_global_offset_x
      - .offset:         96
        .size:           8
        .value_kind:     hidden_global_offset_y
      - .offset:         104
        .size:           8
        .value_kind:     hidden_global_offset_z
      - .offset:         112
        .size:           2
        .value_kind:     hidden_grid_dims
    .group_segment_fixed_size: 1024
    .kernarg_segment_align: 8
    .kernarg_segment_size: 304
    .language:       OpenCL C
    .language_version:
      - 2
      - 0
    .max_flat_workgroup_size: 256
    .name:           _ZN9rocsparseL17doti_kernel_part1ILj256ELj2EiaafEEvT1_PKT2_PKS1_PKT3_PT4_21rocsparse_index_base_
    .private_segment_fixed_size: 0
    .sgpr_count:     17
    .sgpr_spill_count: 0
    .symbol:         _ZN9rocsparseL17doti_kernel_part1ILj256ELj2EiaafEEvT1_PKT2_PKS1_PKT3_PT4_21rocsparse_index_base_.kd
    .uniform_work_group_size: 1
    .uses_dynamic_stack: false
    .vgpr_count:     9
    .vgpr_spill_count: 0
    .wavefront_size: 32
  - .args:
      - .offset:         0
        .size:           8
        .value_kind:     by_value
      - .address_space:  global
        .offset:         8
        .size:           8
        .value_kind:     global_buffer
      - .address_space:  global
        .offset:         16
        .size:           8
        .value_kind:     global_buffer
      - .address_space:  global
        .offset:         24
        .size:           8
        .value_kind:     global_buffer
      - .address_space:  global
        .offset:         32
        .size:           8
        .value_kind:     global_buffer
      - .offset:         40
        .size:           4
        .value_kind:     by_value
      - .offset:         48
        .size:           4
        .value_kind:     hidden_block_count_x
      - .offset:         52
        .size:           4
        .value_kind:     hidden_block_count_y
      - .offset:         56
        .size:           4
        .value_kind:     hidden_block_count_z
      - .offset:         60
        .size:           2
        .value_kind:     hidden_group_size_x
      - .offset:         62
        .size:           2
        .value_kind:     hidden_group_size_y
      - .offset:         64
        .size:           2
        .value_kind:     hidden_group_size_z
      - .offset:         66
        .size:           2
        .value_kind:     hidden_remainder_x
      - .offset:         68
        .size:           2
        .value_kind:     hidden_remainder_y
      - .offset:         70
        .size:           2
        .value_kind:     hidden_remainder_z
      - .offset:         88
        .size:           8
        .value_kind:     hidden_global_offset_x
      - .offset:         96
        .size:           8
        .value_kind:     hidden_global_offset_y
      - .offset:         104
        .size:           8
        .value_kind:     hidden_global_offset_z
      - .offset:         112
        .size:           2
        .value_kind:     hidden_grid_dims
    .group_segment_fixed_size: 1024
    .kernarg_segment_align: 8
    .kernarg_segment_size: 304
    .language:       OpenCL C
    .language_version:
      - 2
      - 0
    .max_flat_workgroup_size: 256
    .name:           _ZN9rocsparseL17doti_kernel_part1ILj256ELj2ElaafEEvT1_PKT2_PKS1_PKT3_PT4_21rocsparse_index_base_
    .private_segment_fixed_size: 0
    .sgpr_count:     25
    .sgpr_spill_count: 0
    .symbol:         _ZN9rocsparseL17doti_kernel_part1ILj256ELj2ElaafEEvT1_PKT2_PKS1_PKT3_PT4_21rocsparse_index_base_.kd
    .uniform_work_group_size: 1
    .uses_dynamic_stack: false
    .vgpr_count:     18
    .vgpr_spill_count: 0
    .wavefront_size: 32
amdhsa.target:   amdgcn-amd-amdhsa--gfx1250
amdhsa.version:
  - 1
  - 2
...

	.end_amdgpu_metadata
